;; amdgpu-corpus repo=ROCm/rocFFT kind=compiled arch=gfx950 opt=O3
	.text
	.amdgcn_target "amdgcn-amd-amdhsa--gfx950"
	.amdhsa_code_object_version 6
	.protected	fft_rtc_fwd_len1008_factors_2_2_2_2_3_3_7_wgs_56_tpt_56_halfLds_sp_ip_CI_unitstride_sbrr_C2R_dirReg ; -- Begin function fft_rtc_fwd_len1008_factors_2_2_2_2_3_3_7_wgs_56_tpt_56_halfLds_sp_ip_CI_unitstride_sbrr_C2R_dirReg
	.globl	fft_rtc_fwd_len1008_factors_2_2_2_2_3_3_7_wgs_56_tpt_56_halfLds_sp_ip_CI_unitstride_sbrr_C2R_dirReg
	.p2align	8
	.type	fft_rtc_fwd_len1008_factors_2_2_2_2_3_3_7_wgs_56_tpt_56_halfLds_sp_ip_CI_unitstride_sbrr_C2R_dirReg,@function
fft_rtc_fwd_len1008_factors_2_2_2_2_3_3_7_wgs_56_tpt_56_halfLds_sp_ip_CI_unitstride_sbrr_C2R_dirReg: ; @fft_rtc_fwd_len1008_factors_2_2_2_2_3_3_7_wgs_56_tpt_56_halfLds_sp_ip_CI_unitstride_sbrr_C2R_dirReg
; %bb.0:
	s_load_dwordx2 s[8:9], s[0:1], 0x50
	s_load_dwordx4 s[4:7], s[0:1], 0x0
	s_load_dwordx2 s[10:11], s[0:1], 0x18
	v_mul_u32_u24_e32 v1, 0x493, v0
	v_add_u32_sdwa v6, s2, v1 dst_sel:DWORD dst_unused:UNUSED_PAD src0_sel:DWORD src1_sel:WORD_1
	v_mov_b32_e32 v4, 0
	s_waitcnt lgkmcnt(0)
	v_cmp_lt_u64_e64 s[2:3], s[6:7], 2
	v_mov_b32_e32 v7, v4
	s_and_b64 vcc, exec, s[2:3]
	v_mov_b64_e32 v[2:3], 0
	s_cbranch_vccnz .LBB0_8
; %bb.1:
	s_load_dwordx2 s[2:3], s[0:1], 0x10
	s_add_u32 s12, s10, 8
	s_addc_u32 s13, s11, 0
	s_mov_b64 s[14:15], 1
	v_mov_b64_e32 v[2:3], 0
	s_waitcnt lgkmcnt(0)
	s_add_u32 s16, s2, 8
	s_addc_u32 s17, s3, 0
.LBB0_2:                                ; =>This Inner Loop Header: Depth=1
	s_load_dwordx2 s[18:19], s[16:17], 0x0
                                        ; implicit-def: $vgpr8_vgpr9
	s_waitcnt lgkmcnt(0)
	v_or_b32_e32 v5, s19, v7
	v_cmp_ne_u64_e32 vcc, 0, v[4:5]
	s_and_saveexec_b64 s[2:3], vcc
	s_xor_b64 s[20:21], exec, s[2:3]
	s_cbranch_execz .LBB0_4
; %bb.3:                                ;   in Loop: Header=BB0_2 Depth=1
	v_cvt_f32_u32_e32 v1, s18
	v_cvt_f32_u32_e32 v5, s19
	s_sub_u32 s2, 0, s18
	s_subb_u32 s3, 0, s19
	v_fmac_f32_e32 v1, 0x4f800000, v5
	v_rcp_f32_e32 v1, v1
	s_nop 0
	v_mul_f32_e32 v1, 0x5f7ffffc, v1
	v_mul_f32_e32 v5, 0x2f800000, v1
	v_trunc_f32_e32 v5, v5
	v_fmac_f32_e32 v1, 0xcf800000, v5
	v_cvt_u32_f32_e32 v5, v5
	v_cvt_u32_f32_e32 v1, v1
	v_mul_lo_u32 v8, s2, v5
	v_mul_hi_u32 v10, s2, v1
	v_mul_lo_u32 v9, s3, v1
	v_add_u32_e32 v10, v10, v8
	v_mul_lo_u32 v12, s2, v1
	v_add_u32_e32 v13, v10, v9
	v_mul_hi_u32 v8, v1, v12
	v_mul_hi_u32 v11, v1, v13
	v_mul_lo_u32 v10, v1, v13
	v_mov_b32_e32 v9, v4
	v_lshl_add_u64 v[8:9], v[8:9], 0, v[10:11]
	v_mul_hi_u32 v11, v5, v12
	v_mul_lo_u32 v12, v5, v12
	v_add_co_u32_e32 v8, vcc, v8, v12
	v_mul_hi_u32 v10, v5, v13
	s_nop 0
	v_addc_co_u32_e32 v8, vcc, v9, v11, vcc
	v_mov_b32_e32 v9, v4
	s_nop 0
	v_addc_co_u32_e32 v11, vcc, 0, v10, vcc
	v_mul_lo_u32 v10, v5, v13
	v_lshl_add_u64 v[8:9], v[8:9], 0, v[10:11]
	v_add_co_u32_e32 v1, vcc, v1, v8
	v_mul_lo_u32 v10, s2, v1
	s_nop 0
	v_addc_co_u32_e32 v5, vcc, v5, v9, vcc
	v_mul_lo_u32 v8, s2, v5
	v_mul_hi_u32 v9, s2, v1
	v_add_u32_e32 v8, v9, v8
	v_mul_lo_u32 v9, s3, v1
	v_add_u32_e32 v12, v8, v9
	v_mul_hi_u32 v14, v5, v10
	v_mul_lo_u32 v15, v5, v10
	v_mul_hi_u32 v9, v1, v12
	v_mul_lo_u32 v8, v1, v12
	v_mul_hi_u32 v10, v1, v10
	v_mov_b32_e32 v11, v4
	v_lshl_add_u64 v[8:9], v[10:11], 0, v[8:9]
	v_add_co_u32_e32 v8, vcc, v8, v15
	v_mul_hi_u32 v13, v5, v12
	s_nop 0
	v_addc_co_u32_e32 v8, vcc, v9, v14, vcc
	v_mul_lo_u32 v10, v5, v12
	s_nop 0
	v_addc_co_u32_e32 v11, vcc, 0, v13, vcc
	v_mov_b32_e32 v9, v4
	v_lshl_add_u64 v[8:9], v[8:9], 0, v[10:11]
	v_add_co_u32_e32 v1, vcc, v1, v8
	v_mul_hi_u32 v10, v6, v1
	s_nop 0
	v_addc_co_u32_e32 v5, vcc, v5, v9, vcc
	v_mad_u64_u32 v[8:9], s[2:3], v6, v5, 0
	v_mov_b32_e32 v11, v4
	v_lshl_add_u64 v[8:9], v[10:11], 0, v[8:9]
	v_mad_u64_u32 v[12:13], s[2:3], v7, v1, 0
	v_add_co_u32_e32 v1, vcc, v8, v12
	v_mad_u64_u32 v[10:11], s[2:3], v7, v5, 0
	s_nop 0
	v_addc_co_u32_e32 v8, vcc, v9, v13, vcc
	v_mov_b32_e32 v9, v4
	s_nop 0
	v_addc_co_u32_e32 v11, vcc, 0, v11, vcc
	v_lshl_add_u64 v[8:9], v[8:9], 0, v[10:11]
	v_mul_lo_u32 v1, s19, v8
	v_mul_lo_u32 v5, s18, v9
	v_mad_u64_u32 v[10:11], s[2:3], s18, v8, 0
	v_add3_u32 v1, v11, v5, v1
	v_sub_u32_e32 v5, v7, v1
	v_mov_b32_e32 v11, s19
	v_sub_co_u32_e32 v14, vcc, v6, v10
	v_lshl_add_u64 v[12:13], v[8:9], 0, 1
	s_nop 0
	v_subb_co_u32_e64 v5, s[2:3], v5, v11, vcc
	v_subrev_co_u32_e64 v10, s[2:3], s18, v14
	v_subb_co_u32_e32 v1, vcc, v7, v1, vcc
	s_nop 0
	v_subbrev_co_u32_e64 v5, s[2:3], 0, v5, s[2:3]
	v_cmp_le_u32_e64 s[2:3], s19, v5
	v_cmp_le_u32_e32 vcc, s19, v1
	s_nop 0
	v_cndmask_b32_e64 v11, 0, -1, s[2:3]
	v_cmp_le_u32_e64 s[2:3], s18, v10
	s_nop 1
	v_cndmask_b32_e64 v10, 0, -1, s[2:3]
	v_cmp_eq_u32_e64 s[2:3], s19, v5
	s_nop 1
	v_cndmask_b32_e64 v5, v11, v10, s[2:3]
	v_lshl_add_u64 v[10:11], v[8:9], 0, 2
	v_cmp_ne_u32_e64 s[2:3], 0, v5
	s_nop 1
	v_cndmask_b32_e64 v5, v13, v11, s[2:3]
	v_cndmask_b32_e64 v11, 0, -1, vcc
	v_cmp_le_u32_e32 vcc, s18, v14
	s_nop 1
	v_cndmask_b32_e64 v13, 0, -1, vcc
	v_cmp_eq_u32_e32 vcc, s19, v1
	s_nop 1
	v_cndmask_b32_e32 v1, v11, v13, vcc
	v_cmp_ne_u32_e32 vcc, 0, v1
	v_cndmask_b32_e64 v1, v12, v10, s[2:3]
	s_nop 0
	v_cndmask_b32_e32 v9, v9, v5, vcc
	v_cndmask_b32_e32 v8, v8, v1, vcc
.LBB0_4:                                ;   in Loop: Header=BB0_2 Depth=1
	s_andn2_saveexec_b64 s[2:3], s[20:21]
	s_cbranch_execz .LBB0_6
; %bb.5:                                ;   in Loop: Header=BB0_2 Depth=1
	v_cvt_f32_u32_e32 v1, s18
	s_sub_i32 s20, 0, s18
	v_rcp_iflag_f32_e32 v1, v1
	s_nop 0
	v_mul_f32_e32 v1, 0x4f7ffffe, v1
	v_cvt_u32_f32_e32 v1, v1
	v_mul_lo_u32 v5, s20, v1
	v_mul_hi_u32 v5, v1, v5
	v_add_u32_e32 v1, v1, v5
	v_mul_hi_u32 v1, v6, v1
	v_mul_lo_u32 v5, v1, s18
	v_sub_u32_e32 v5, v6, v5
	v_add_u32_e32 v8, 1, v1
	v_subrev_u32_e32 v9, s18, v5
	v_cmp_le_u32_e32 vcc, s18, v5
	s_nop 1
	v_cndmask_b32_e32 v5, v5, v9, vcc
	v_cndmask_b32_e32 v1, v1, v8, vcc
	v_add_u32_e32 v8, 1, v1
	v_cmp_le_u32_e32 vcc, s18, v5
	v_mov_b32_e32 v9, v4
	s_nop 0
	v_cndmask_b32_e32 v8, v1, v8, vcc
.LBB0_6:                                ;   in Loop: Header=BB0_2 Depth=1
	s_or_b64 exec, exec, s[2:3]
	v_mad_u64_u32 v[10:11], s[2:3], v8, s18, 0
	s_load_dwordx2 s[2:3], s[12:13], 0x0
	v_mul_lo_u32 v1, v9, s18
	v_mul_lo_u32 v5, v8, s19
	v_add3_u32 v1, v11, v5, v1
	v_sub_co_u32_e32 v5, vcc, v6, v10
	s_add_u32 s14, s14, 1
	s_nop 0
	v_subb_co_u32_e32 v1, vcc, v7, v1, vcc
	s_addc_u32 s15, s15, 0
	s_waitcnt lgkmcnt(0)
	v_mul_lo_u32 v1, s2, v1
	v_mul_lo_u32 v6, s3, v5
	v_mad_u64_u32 v[2:3], s[2:3], s2, v5, v[2:3]
	s_add_u32 s12, s12, 8
	v_add3_u32 v3, v6, v3, v1
	s_addc_u32 s13, s13, 0
	v_mov_b64_e32 v[6:7], s[6:7]
	s_add_u32 s16, s16, 8
	v_cmp_ge_u64_e32 vcc, s[14:15], v[6:7]
	s_addc_u32 s17, s17, 0
	s_cbranch_vccnz .LBB0_9
; %bb.7:                                ;   in Loop: Header=BB0_2 Depth=1
	v_mov_b64_e32 v[6:7], v[8:9]
	s_branch .LBB0_2
.LBB0_8:
	v_mov_b64_e32 v[8:9], v[6:7]
.LBB0_9:
	s_lshl_b64 s[2:3], s[6:7], 3
	s_add_u32 s2, s10, s2
	s_addc_u32 s3, s11, s3
	s_load_dwordx2 s[6:7], s[2:3], 0x0
	s_load_dwordx2 s[10:11], s[0:1], 0x20
	s_mov_b32 s2, 0x4924925
	s_waitcnt lgkmcnt(0)
	v_mul_lo_u32 v1, s6, v9
	v_mul_lo_u32 v4, s7, v8
	v_mad_u64_u32 v[2:3], s[0:1], s6, v8, v[2:3]
	v_add3_u32 v3, v4, v3, v1
	v_mul_hi_u32 v1, v0, s2
	v_mul_u32_u24_e32 v1, 56, v1
	v_cmp_gt_u64_e64 s[0:1], s[10:11], v[8:9]
	v_sub_u32_e32 v56, v0, v1
	v_lshl_add_u64 v[58:59], v[2:3], 3, s[8:9]
	s_and_saveexec_b64 s[2:3], s[0:1]
	s_cbranch_execz .LBB0_13
; %bb.10:
	v_mov_b32_e32 v57, 0
	v_lshl_add_u64 v[0:1], v[56:57], 3, v[58:59]
	s_movk_i32 s6, 0x1000
	v_add_co_u32_e32 v18, vcc, s6, v0
	global_load_dwordx2 v[2:3], v[0:1], off
	global_load_dwordx2 v[4:5], v[0:1], off offset:448
	global_load_dwordx2 v[6:7], v[0:1], off offset:896
	;; [unrolled: 1-line block ×7, first 2 shown]
	v_addc_co_u32_e32 v19, vcc, 0, v1, vcc
	global_load_dwordx2 v[20:21], v[0:1], off offset:3584
	global_load_dwordx2 v[22:23], v[0:1], off offset:4032
	;; [unrolled: 1-line block ×8, first 2 shown]
	v_or_b32_e32 v0, 0x380, v56
	v_mov_b32_e32 v1, v57
	v_lshl_add_u64 v[0:1], v[0:1], 3, v[58:59]
	global_load_dwordx2 v[36:37], v[0:1], off
	global_load_dwordx2 v[38:39], v[18:19], off offset:3520
	v_lshl_add_u32 v0, v56, 3, 0
	v_cmp_eq_u32_e32 vcc, 55, v56
	v_add_u32_e32 v1, 0x400, v0
	v_add_u32_e32 v18, 0x800, v0
	;; [unrolled: 1-line block ×4, first 2 shown]
	s_waitcnt vmcnt(16)
	ds_write2_b64 v0, v[2:3], v[4:5] offset1:56
	s_waitcnt vmcnt(14)
	ds_write2_b64 v0, v[6:7], v[8:9] offset0:112 offset1:168
	s_waitcnt vmcnt(12)
	ds_write2_b64 v1, v[10:11], v[12:13] offset0:96 offset1:152
	;; [unrolled: 2-line block ×8, first 2 shown]
	s_and_saveexec_b64 s[6:7], vcc
	s_cbranch_execz .LBB0_12
; %bb.11:
	v_add_co_u32_e32 v0, vcc, 0x1000, v58
	v_mov_b32_e32 v56, 55
	s_nop 0
	v_addc_co_u32_e32 v1, vcc, 0, v59, vcc
	global_load_dwordx2 v[0:1], v[0:1], off offset:3968
	s_waitcnt vmcnt(0)
	ds_write_b64 v57, v[0:1] offset:8064
.LBB0_12:
	s_or_b64 exec, exec, s[6:7]
.LBB0_13:
	s_or_b64 exec, exec, s[2:3]
	v_lshlrev_b32_e32 v0, 3, v56
	v_add_u32_e32 v70, 0, v0
	s_waitcnt lgkmcnt(0)
	; wave barrier
	s_waitcnt lgkmcnt(0)
	v_sub_u32_e32 v7, 0, v0
	ds_read_b32 v1, v70
	ds_read_b32 v2, v7 offset:8064
	s_add_u32 s2, s4, 0x1f70
	s_addc_u32 s3, s5, 0
	v_cmp_ne_u32_e32 vcc, 0, v56
	s_waitcnt lgkmcnt(0)
	v_add_f32_e32 v0, v2, v1
	v_sub_f32_e32 v1, v1, v2
                                        ; implicit-def: $vgpr2_vgpr3
	s_and_saveexec_b64 s[6:7], vcc
	s_xor_b64 s[6:7], exec, s[6:7]
	s_cbranch_execz .LBB0_15
; %bb.14:
	v_mov_b32_e32 v57, 0
	v_lshl_add_u64 v[2:3], v[56:57], 3, s[2:3]
	global_load_dwordx2 v[4:5], v[2:3], off
	ds_read_b32 v6, v7 offset:8068
	ds_read_b32 v11, v70 offset:4
	v_mov_b32_e32 v8, v1
	v_mov_b32_e32 v10, v0
	;; [unrolled: 1-line block ×3, first 2 shown]
	v_mov_b64_e32 v[2:3], v[56:57]
	s_waitcnt lgkmcnt(0)
	v_add_f32_e32 v9, v6, v11
	v_sub_f32_e32 v11, v11, v6
	v_mov_b32_e32 v12, v9
	s_waitcnt vmcnt(0)
	v_pk_mul_f32 v[14:15], v[8:9], v[4:5] op_sel:[0,1]
	v_pk_fma_f32 v[8:9], v[8:9], v[4:5], v[10:11] op_sel:[0,1,0]
	v_mov_b32_e32 v1, v15
	v_mov_b32_e32 v15, v11
	v_pk_fma_f32 v[16:17], v[4:5], v[12:13], v[8:9] neg_lo:[1,0,0] neg_hi:[1,0,0]
	v_pk_fma_f32 v[8:9], v[4:5], v[12:13], v[8:9] op_sel_hi:[0,1,1]
	v_pk_add_f32 v[0:1], v[0:1], v[14:15] neg_lo:[0,1] neg_hi:[0,1]
	v_mov_b32_e32 v17, v9
	v_pk_fma_f32 v[0:1], v[4:5], v[12:13], v[0:1] op_sel_hi:[0,1,1]
	ds_write_b64 v7, v[0:1] offset:8064
	v_mov_b64_e32 v[0:1], v[16:17]
.LBB0_15:
	s_andn2_saveexec_b64 s[6:7], s[6:7]
	s_cbranch_execz .LBB0_17
; %bb.16:
	v_mov_b32_e32 v4, 0
	ds_read_b64 v[2:3], v4 offset:4032
	s_mov_b32 s8, 2.0
	s_mov_b32 s9, -2.0
	s_waitcnt lgkmcnt(0)
	v_pk_mul_f32 v[2:3], v[2:3], s[8:9]
	ds_write_b64 v4, v[2:3] offset:4032
	v_mov_b64_e32 v[2:3], 0
.LBB0_17:
	s_or_b64 exec, exec, s[6:7]
	v_lshl_add_u64 v[8:9], v[2:3], 3, s[2:3]
	global_load_dwordx2 v[4:5], v[8:9], off offset:448
	global_load_dwordx2 v[10:11], v[8:9], off offset:896
	;; [unrolled: 1-line block ×3, first 2 shown]
	v_add_u32_e32 v2, 0xe0, v56
	v_mov_b32_e32 v3, 0
	ds_write_b64 v70, v[0:1]
	v_lshl_add_u64 v[0:1], v[2:3], 3, s[2:3]
	global_load_dwordx2 v[14:15], v[0:1], off
	ds_read_b64 v[16:17], v7 offset:7616
	ds_read_b64 v[18:19], v70 offset:448
	v_add_u32_e32 v0, 0x118, v56
	v_mov_b32_e32 v1, v3
	v_lshl_add_u64 v[22:23], v[0:1], 3, s[2:3]
	global_load_dwordx2 v[20:21], v[8:9], off offset:2688
	s_waitcnt lgkmcnt(0)
	v_pk_add_f32 v[24:25], v[18:19], v[16:17]
	global_load_dwordx2 v[22:23], v[22:23], off
	v_pk_add_f32 v[16:17], v[18:19], v[16:17] neg_lo:[0,1] neg_hi:[0,1]
	v_mov_b32_e32 v18, v25
	v_mov_b32_e32 v19, v16
	;; [unrolled: 1-line block ×3, first 2 shown]
	v_lshl_add_u32 v1, v2, 3, 0
	v_add_u32_e32 v57, 0x70, v56
	v_add_u32_e32 v6, 0xa8, v56
	;; [unrolled: 1-line block ×4, first 2 shown]
	v_lshl_add_u32 v48, v56, 3, v70
	v_lshl_add_u32 v49, v57, 4, 0
	v_lshlrev_b32_e32 v68, 1, v56
	s_movk_i32 s2, 0x7c
	s_movk_i32 s3, 0xfc
	v_lshlrev_b32_e32 v71, 1, v57
	v_lshlrev_b32_e32 v72, 1, v6
	v_lshlrev_b32_e32 v73, 1, v2
	v_lshlrev_b32_e32 v74, 1, v0
	v_lshlrev_b32_e32 v75, 1, v62
	v_lshlrev_b32_e32 v76, 1, v63
	v_and_b32_e32 v78, 15, v56
	v_cmp_gt_u32_e32 vcc, 48, v56
	s_mov_b32 s6, 0x5040100
	s_waitcnt vmcnt(5)
	v_pk_mul_f32 v[26:27], v[18:19], v[4:5] op_sel:[0,1]
	s_nop 0
	v_pk_add_f32 v[28:29], v[24:25], v[26:27] op_sel:[0,1] op_sel_hi:[1,0]
	v_mov_b32_e32 v25, v26
	v_mov_b32_e32 v16, v27
	v_pk_fma_f32 v[26:27], v[4:5], v[18:19], v[28:29] neg_lo:[1,0,0] neg_hi:[1,0,0]
	v_pk_fma_f32 v[28:29], v[4:5], v[18:19], v[28:29] op_sel_hi:[0,1,1]
	v_pk_add_f32 v[16:17], v[24:25], v[16:17] neg_lo:[0,1] neg_hi:[0,1]
	v_mov_b32_e32 v27, v29
	v_pk_fma_f32 v[4:5], v[4:5], v[18:19], v[16:17] op_sel_hi:[0,1,1]
	ds_write_b64 v70, v[26:27] offset:448
	ds_write_b64 v7, v[4:5] offset:7616
	ds_read_b64 v[4:5], v7 offset:7168
	ds_read_b64 v[16:17], v70 offset:896
	s_waitcnt lgkmcnt(0)
	v_pk_add_f32 v[18:19], v[16:17], v[4:5]
	v_pk_add_f32 v[4:5], v[16:17], v[4:5] neg_lo:[0,1] neg_hi:[0,1]
	v_mov_b32_e32 v16, v19
	v_mov_b32_e32 v17, v4
	;; [unrolled: 1-line block ×3, first 2 shown]
	s_waitcnt vmcnt(4)
	v_pk_mul_f32 v[24:25], v[16:17], v[10:11] op_sel:[0,1]
	s_nop 0
	v_pk_add_f32 v[26:27], v[18:19], v[24:25] op_sel:[0,1] op_sel_hi:[1,0]
	v_mov_b32_e32 v19, v24
	v_mov_b32_e32 v4, v25
	v_pk_fma_f32 v[24:25], v[10:11], v[16:17], v[26:27] neg_lo:[1,0,0] neg_hi:[1,0,0]
	v_pk_fma_f32 v[26:27], v[10:11], v[16:17], v[26:27] op_sel_hi:[0,1,1]
	v_pk_add_f32 v[4:5], v[18:19], v[4:5] neg_lo:[0,1] neg_hi:[0,1]
	v_mov_b32_e32 v25, v27
	v_pk_fma_f32 v[4:5], v[10:11], v[16:17], v[4:5] op_sel_hi:[0,1,1]
	ds_write_b64 v70, v[24:25] offset:896
	ds_write_b64 v7, v[4:5] offset:7168
	ds_read_b64 v[4:5], v7 offset:6720
	ds_read_b64 v[10:11], v70 offset:1344
	s_waitcnt lgkmcnt(0)
	v_pk_add_f32 v[16:17], v[10:11], v[4:5]
	v_pk_add_f32 v[4:5], v[10:11], v[4:5] neg_lo:[0,1] neg_hi:[0,1]
	v_mov_b32_e32 v10, v17
	v_mov_b32_e32 v11, v4
	v_mov_b32_e32 v17, v5
	s_waitcnt vmcnt(3)
	v_pk_mul_f32 v[18:19], v[10:11], v[12:13] op_sel:[0,1]
	s_nop 0
	v_pk_add_f32 v[24:25], v[16:17], v[18:19] op_sel:[0,1] op_sel_hi:[1,0]
	v_mov_b32_e32 v17, v18
	v_mov_b32_e32 v4, v19
	v_pk_add_f32 v[4:5], v[16:17], v[4:5] neg_lo:[0,1] neg_hi:[0,1]
	v_pk_fma_f32 v[18:19], v[12:13], v[10:11], v[24:25] neg_lo:[1,0,0] neg_hi:[1,0,0]
	v_pk_fma_f32 v[24:25], v[12:13], v[10:11], v[24:25] op_sel_hi:[0,1,1]
	v_pk_fma_f32 v[4:5], v[12:13], v[10:11], v[4:5] op_sel_hi:[0,1,1]
	global_load_dwordx2 v[10:11], v[8:9], off offset:3136
	v_mov_b32_e32 v19, v25
	ds_write_b64 v70, v[18:19] offset:1344
	ds_write_b64 v7, v[4:5] offset:6720
	ds_read_b64 v[12:13], v7 offset:6272
	ds_read_b64 v[16:17], v1
	global_load_dwordx2 v[8:9], v[8:9], off offset:3584
	v_lshl_add_u32 v4, v0, 3, 0
	v_add_u32_e32 v5, 56, v56
	v_lshlrev_b32_e32 v69, 1, v5
	s_waitcnt lgkmcnt(0)
	v_pk_add_f32 v[18:19], v[16:17], v[12:13]
	v_pk_add_f32 v[12:13], v[16:17], v[12:13] neg_lo:[0,1] neg_hi:[0,1]
	v_mov_b32_e32 v16, v19
	v_mov_b32_e32 v17, v12
	;; [unrolled: 1-line block ×3, first 2 shown]
	s_waitcnt vmcnt(4)
	v_pk_mul_f32 v[24:25], v[16:17], v[14:15] op_sel:[0,1]
	v_and_b32_e32 v79, 15, v5
	v_pk_add_f32 v[26:27], v[18:19], v[24:25] op_sel:[0,1] op_sel_hi:[1,0]
	v_mov_b32_e32 v19, v24
	v_mov_b32_e32 v12, v25
	v_pk_fma_f32 v[24:25], v[14:15], v[16:17], v[26:27] neg_lo:[1,0,0] neg_hi:[1,0,0]
	v_pk_fma_f32 v[26:27], v[14:15], v[16:17], v[26:27] op_sel_hi:[0,1,1]
	v_pk_add_f32 v[12:13], v[18:19], v[12:13] neg_lo:[0,1] neg_hi:[0,1]
	v_mov_b32_e32 v25, v27
	v_pk_fma_f32 v[12:13], v[14:15], v[16:17], v[12:13] op_sel_hi:[0,1,1]
	ds_write_b64 v1, v[24:25]
	ds_write_b64 v7, v[12:13] offset:6272
	ds_read_b64 v[12:13], v7 offset:5824
	ds_read_b64 v[14:15], v4
	s_waitcnt lgkmcnt(0)
	v_pk_add_f32 v[16:17], v[14:15], v[12:13]
	v_pk_add_f32 v[12:13], v[14:15], v[12:13] neg_lo:[0,1] neg_hi:[0,1]
	v_mov_b32_e32 v14, v17
	v_mov_b32_e32 v15, v12
	;; [unrolled: 1-line block ×3, first 2 shown]
	s_waitcnt vmcnt(2)
	v_pk_mul_f32 v[18:19], v[14:15], v[22:23] op_sel:[0,1]
	s_nop 0
	v_pk_add_f32 v[24:25], v[16:17], v[18:19] op_sel:[0,1] op_sel_hi:[1,0]
	v_mov_b32_e32 v17, v18
	v_mov_b32_e32 v12, v19
	v_pk_fma_f32 v[18:19], v[22:23], v[14:15], v[24:25] neg_lo:[1,0,0] neg_hi:[1,0,0]
	v_pk_fma_f32 v[24:25], v[22:23], v[14:15], v[24:25] op_sel_hi:[0,1,1]
	v_pk_add_f32 v[12:13], v[16:17], v[12:13] neg_lo:[0,1] neg_hi:[0,1]
	v_mov_b32_e32 v19, v25
	v_pk_fma_f32 v[12:13], v[22:23], v[14:15], v[12:13] op_sel_hi:[0,1,1]
	ds_write_b64 v4, v[18:19]
	ds_write_b64 v7, v[12:13] offset:5824
	ds_read_b64 v[12:13], v7 offset:5376
	ds_read_b64 v[14:15], v70 offset:2688
	s_waitcnt lgkmcnt(0)
	v_pk_add_f32 v[16:17], v[14:15], v[12:13]
	v_pk_add_f32 v[12:13], v[14:15], v[12:13] neg_lo:[0,1] neg_hi:[0,1]
	v_mov_b32_e32 v14, v17
	v_mov_b32_e32 v15, v12
	;; [unrolled: 1-line block ×3, first 2 shown]
	v_pk_mul_f32 v[18:19], v[14:15], v[20:21] op_sel:[0,1]
	s_nop 0
	v_pk_add_f32 v[22:23], v[16:17], v[18:19] op_sel:[0,1] op_sel_hi:[1,0]
	v_mov_b32_e32 v17, v18
	v_mov_b32_e32 v12, v19
	v_pk_fma_f32 v[18:19], v[20:21], v[14:15], v[22:23] neg_lo:[1,0,0] neg_hi:[1,0,0]
	v_pk_fma_f32 v[22:23], v[20:21], v[14:15], v[22:23] op_sel_hi:[0,1,1]
	v_pk_add_f32 v[12:13], v[16:17], v[12:13] neg_lo:[0,1] neg_hi:[0,1]
	v_mov_b32_e32 v19, v23
	v_pk_fma_f32 v[12:13], v[20:21], v[14:15], v[12:13] op_sel_hi:[0,1,1]
	ds_write_b64 v70, v[18:19] offset:2688
	ds_write_b64 v7, v[12:13] offset:5376
	ds_read_b64 v[12:13], v7 offset:4928
	ds_read_b64 v[14:15], v70 offset:3136
	s_waitcnt lgkmcnt(0)
	v_pk_add_f32 v[16:17], v[14:15], v[12:13]
	v_pk_add_f32 v[12:13], v[14:15], v[12:13] neg_lo:[0,1] neg_hi:[0,1]
	v_mov_b32_e32 v14, v17
	v_mov_b32_e32 v15, v12
	;; [unrolled: 1-line block ×3, first 2 shown]
	s_waitcnt vmcnt(1)
	v_pk_mul_f32 v[18:19], v[14:15], v[10:11] op_sel:[0,1]
	s_nop 0
	v_pk_add_f32 v[20:21], v[16:17], v[18:19] op_sel:[0,1] op_sel_hi:[1,0]
	v_mov_b32_e32 v17, v18
	v_mov_b32_e32 v12, v19
	v_pk_fma_f32 v[18:19], v[10:11], v[14:15], v[20:21] neg_lo:[1,0,0] neg_hi:[1,0,0]
	v_pk_fma_f32 v[20:21], v[10:11], v[14:15], v[20:21] op_sel_hi:[0,1,1]
	v_pk_add_f32 v[12:13], v[16:17], v[12:13] neg_lo:[0,1] neg_hi:[0,1]
	v_mov_b32_e32 v19, v21
	v_pk_fma_f32 v[10:11], v[10:11], v[14:15], v[12:13] op_sel_hi:[0,1,1]
	ds_write_b64 v70, v[18:19] offset:3136
	ds_write_b64 v7, v[10:11] offset:4928
	ds_read_b64 v[10:11], v7 offset:4480
	ds_read_b64 v[12:13], v70 offset:3584
	s_waitcnt lgkmcnt(0)
	v_pk_add_f32 v[14:15], v[12:13], v[10:11]
	v_pk_add_f32 v[10:11], v[12:13], v[10:11] neg_lo:[0,1] neg_hi:[0,1]
	v_mov_b32_e32 v12, v15
	v_mov_b32_e32 v13, v10
	;; [unrolled: 1-line block ×3, first 2 shown]
	s_waitcnt vmcnt(0)
	v_pk_mul_f32 v[16:17], v[12:13], v[8:9] op_sel:[0,1]
	s_nop 0
	v_pk_add_f32 v[18:19], v[14:15], v[16:17] op_sel:[0,1] op_sel_hi:[1,0]
	v_mov_b32_e32 v15, v16
	v_mov_b32_e32 v10, v17
	v_pk_fma_f32 v[16:17], v[8:9], v[12:13], v[18:19] neg_lo:[1,0,0] neg_hi:[1,0,0]
	v_pk_fma_f32 v[18:19], v[8:9], v[12:13], v[18:19] op_sel_hi:[0,1,1]
	v_pk_add_f32 v[10:11], v[14:15], v[10:11] neg_lo:[0,1] neg_hi:[0,1]
	v_mov_b32_e32 v17, v19
	v_pk_fma_f32 v[8:9], v[8:9], v[12:13], v[10:11] op_sel_hi:[0,1,1]
	ds_write_b64 v70, v[16:17] offset:3584
	ds_write_b64 v7, v[8:9] offset:4480
	v_add_u32_e32 v8, 0x800, v70
	s_waitcnt lgkmcnt(0)
	; wave barrier
	s_waitcnt lgkmcnt(0)
	s_waitcnt lgkmcnt(0)
	; wave barrier
	s_waitcnt lgkmcnt(0)
	ds_read2_b64 v[10:13], v70 offset1:56
	ds_read2_b64 v[14:17], v8 offset0:192 offset1:248
	v_add_u32_e32 v9, 0x1000, v70
	ds_read2_b64 v[18:21], v9 offset0:48 offset1:104
	ds_read2_b64 v[22:25], v70 offset0:112 offset1:168
	v_or_b32_e32 v7, 0x1c0, v56
	s_waitcnt lgkmcnt(2)
	v_pk_add_f32 v[42:43], v[10:11], v[16:17] neg_lo:[0,1] neg_hi:[0,1]
	v_lshl_add_u32 v50, v7, 4, 0
	v_pk_fma_f32 v[44:45], v[10:11], 2.0, v[42:43] op_sel_hi:[1,0,1] neg_lo:[0,0,1] neg_hi:[0,0,1]
	v_add_u32_e32 v10, 0x400, v70
	ds_read2_b64 v[26:29], v10 offset0:96 offset1:152
	v_add_u32_e32 v10, 0x1800, v70
	s_waitcnt lgkmcnt(2)
	v_pk_add_f32 v[46:47], v[12:13], v[18:19] neg_lo:[0,1] neg_hi:[0,1]
	ds_read2_b64 v[16:19], v9 offset0:160 offset1:216
	ds_read2_b64 v[30:33], v10 offset0:16 offset1:72
	;; [unrolled: 1-line block ×4, first 2 shown]
	v_lshl_add_u32 v11, v5, 4, 0
	v_pk_fma_f32 v[12:13], v[12:13], 2.0, v[46:47] op_sel_hi:[1,0,1] neg_lo:[0,0,1] neg_hi:[0,0,1]
	s_waitcnt lgkmcnt(5)
	v_pk_add_f32 v[20:21], v[22:23], v[20:21] neg_lo:[0,1] neg_hi:[0,1]
	s_waitcnt lgkmcnt(3)
	v_pk_add_f32 v[16:17], v[24:25], v[16:17] neg_lo:[0,1] neg_hi:[0,1]
	v_pk_add_f32 v[18:19], v[26:27], v[18:19] neg_lo:[0,1] neg_hi:[0,1]
	s_waitcnt lgkmcnt(2)
	v_pk_add_f32 v[30:31], v[28:29], v[30:31] neg_lo:[0,1] neg_hi:[0,1]
	s_waitcnt lgkmcnt(1)
	;; [unrolled: 2-line block ×3, first 2 shown]
	v_pk_add_f32 v[38:39], v[36:37], v[38:39] neg_lo:[0,1] neg_hi:[0,1]
	v_pk_add_f32 v[40:41], v[14:15], v[40:41] neg_lo:[0,1] neg_hi:[0,1]
	s_waitcnt lgkmcnt(0)
	; wave barrier
	ds_write2_b64 v48, v[44:45], v[42:43] offset1:1
	v_pk_fma_f32 v[22:23], v[22:23], 2.0, v[20:21] op_sel_hi:[1,0,1] neg_lo:[0,0,1] neg_hi:[0,0,1]
	v_lshl_add_u32 v42, v6, 4, 0
	v_pk_fma_f32 v[24:25], v[24:25], 2.0, v[16:17] op_sel_hi:[1,0,1] neg_lo:[0,0,1] neg_hi:[0,0,1]
	v_lshl_add_u32 v43, v2, 4, 0
	v_pk_fma_f32 v[26:27], v[26:27], 2.0, v[18:19] op_sel_hi:[1,0,1] neg_lo:[0,0,1] neg_hi:[0,0,1]
	v_pk_fma_f32 v[28:29], v[28:29], 2.0, v[30:31] op_sel_hi:[1,0,1] neg_lo:[0,0,1] neg_hi:[0,0,1]
	;; [unrolled: 1-line block ×4, first 2 shown]
	v_lshl_add_u32 v44, v0, 4, 0
	v_lshl_add_u32 v45, v62, 4, 0
	;; [unrolled: 1-line block ×3, first 2 shown]
	v_pk_fma_f32 v[14:15], v[14:15], 2.0, v[40:41] op_sel_hi:[1,0,1] neg_lo:[0,0,1] neg_hi:[0,0,1]
	ds_write2_b64 v11, v[12:13], v[46:47] offset1:1
	ds_write2_b64 v49, v[22:23], v[20:21] offset1:1
	ds_write2_b64 v42, v[24:25], v[16:17] offset1:1
	ds_write2_b64 v43, v[26:27], v[18:19] offset1:1
	ds_write2_b64 v44, v[28:29], v[30:31] offset1:1
	ds_write2_b64 v45, v[34:35], v[32:33] offset1:1
	ds_write2_b64 v48, v[36:37], v[38:39] offset1:1
	ds_write2_b64 v50, v[14:15], v[40:41] offset1:1
	v_and_b32_e32 v11, 1, v56
	v_lshlrev_b32_e32 v12, 3, v11
	s_waitcnt lgkmcnt(0)
	; wave barrier
	s_waitcnt lgkmcnt(0)
	global_load_dwordx2 v[40:41], v12, s[4:5]
	v_and_or_b32 v12, v68, s2, v11
	v_lshl_add_u32 v60, v12, 3, 0
	v_and_or_b32 v12, v69, s3, v11
	v_lshl_add_u32 v61, v12, 3, 0
	ds_read2_b64 v[12:15], v8 offset0:192 offset1:248
	ds_read2_b64 v[16:19], v9 offset0:48 offset1:104
	;; [unrolled: 1-line block ×3, first 2 shown]
	ds_read_b64 v[42:43], v70 offset:6272
	ds_read2_b32 v[44:45], v10 offset0:144 offset1:145
	ds_read2_b64 v[24:27], v10 offset0:128 offset1:184
	ds_read2_b64 v[28:31], v8 offset0:80 offset1:136
	ds_read_b64 v[46:47], v4
	ds_read_b64 v[48:49], v1
	ds_read2_b64 v[32:35], v70 offset1:56
	ds_read2_b64 v[36:39], v70 offset0:112 offset1:168
	s_waitcnt lgkmcnt(0)
	; wave barrier
	s_waitcnt lgkmcnt(0)
	s_movk_i32 s2, 0x1fc
	s_movk_i32 s3, 0x2fc
	v_lshlrev_b32_e32 v7, 1, v7
	s_waitcnt vmcnt(0)
	v_pk_mul_f32 v[50:51], v[40:41], v[14:15] op_sel:[0,1]
	v_pk_mul_f32 v[52:53], v[40:41], v[16:17] op_sel:[0,1]
	v_pk_fma_f32 v[54:55], v[40:41], v[14:15], v[50:51] op_sel:[0,0,1] op_sel_hi:[1,1,0] neg_lo:[0,0,1] neg_hi:[0,0,1]
	v_pk_fma_f32 v[14:15], v[40:41], v[14:15], v[50:51] op_sel:[0,0,1] op_sel_hi:[1,0,0]
	v_pk_fma_f32 v[50:51], v[40:41], v[16:17], v[52:53] op_sel:[0,0,1] op_sel_hi:[1,1,0] neg_lo:[0,0,1] neg_hi:[0,0,1]
	v_pk_fma_f32 v[16:17], v[40:41], v[16:17], v[52:53] op_sel:[0,0,1] op_sel_hi:[1,0,0]
	v_mov_b32_e32 v55, v15
	v_mov_b32_e32 v51, v17
	v_pk_add_f32 v[14:15], v[32:33], v[54:55] neg_lo:[0,1] neg_hi:[0,1]
	v_pk_add_f32 v[16:17], v[34:35], v[50:51] neg_lo:[0,1] neg_hi:[0,1]
	v_pk_fma_f32 v[32:33], v[32:33], 2.0, v[14:15] op_sel_hi:[1,0,1] neg_lo:[0,0,1] neg_hi:[0,0,1]
	v_pk_fma_f32 v[34:35], v[34:35], 2.0, v[16:17] op_sel_hi:[1,0,1] neg_lo:[0,0,1] neg_hi:[0,0,1]
	ds_write2_b64 v60, v[32:33], v[14:15] offset1:2
	ds_write2_b64 v61, v[34:35], v[16:17] offset1:2
	v_pk_mul_f32 v[14:15], v[26:27], v[40:41] op_sel:[0,1]
	s_nop 0
	v_pk_fma_f32 v[16:17], v[26:27], v[40:41], v[14:15] op_sel:[0,0,1] op_sel_hi:[1,1,0] neg_lo:[0,0,1] neg_hi:[0,0,1]
	v_pk_fma_f32 v[14:15], v[26:27], v[40:41], v[14:15] op_sel:[0,0,1] op_sel_hi:[1,0,0]
	v_pk_mul_f32 v[26:27], v[24:25], v[40:41] op_sel:[0,1]
	v_mov_b32_e32 v14, v45
	v_pk_fma_f32 v[32:33], v[24:25], v[40:41], v[26:27] op_sel:[0,0,1] op_sel_hi:[1,1,0] neg_lo:[0,0,1] neg_hi:[0,0,1]
	v_pk_fma_f32 v[24:25], v[24:25], v[40:41], v[26:27] op_sel:[0,0,1] op_sel_hi:[1,0,0]
	v_pk_mul_f32 v[26:27], v[40:41], v[22:23] op_sel:[0,1]
	v_mov_b32_e32 v17, v15
	;; [unrolled: 4-line block ×4, first 2 shown]
	v_pk_fma_f32 v[52:53], v[40:41], v[18:19], v[26:27] op_sel:[0,0,1] op_sel_hi:[1,1,0] neg_lo:[0,0,1] neg_hi:[0,0,1]
	v_pk_fma_f32 v[18:19], v[40:41], v[18:19], v[26:27] op_sel:[0,0,1] op_sel_hi:[1,0,0]
	v_pk_mul_f32 v[26:27], v[14:15], v[40:41] op_sel_hi:[0,1]
	v_pk_fma_f32 v[54:55], v[40:41], v[44:45], v[26:27] op_sel:[0,0,1] op_sel_hi:[1,1,0] neg_lo:[0,0,1] neg_hi:[0,0,1]
	v_pk_fma_f32 v[26:27], v[40:41], v[44:45], v[26:27] op_sel:[0,0,1] op_sel_hi:[1,0,0]
	v_pk_mul_f32 v[44:45], v[40:41], v[42:43] op_sel:[0,1]
	v_and_or_b32 v18, v71, s2, v11
	v_pk_fma_f32 v[60:61], v[40:41], v[42:43], v[44:45] op_sel:[0,0,1] op_sel_hi:[1,1,0] neg_lo:[0,0,1] neg_hi:[0,0,1]
	v_pk_fma_f32 v[40:41], v[40:41], v[42:43], v[44:45] op_sel:[0,0,1] op_sel_hi:[1,0,0]
	v_mov_b32_e32 v55, v27
	v_lshl_add_u32 v40, v18, 3, 0
	v_and_or_b32 v18, v72, s2, v11
	s_movk_i32 s2, 0x3fc
	v_mov_b32_e32 v61, v41
	v_lshl_add_u32 v41, v18, 3, 0
	v_and_or_b32 v18, v73, s2, v11
	v_lshl_add_u32 v42, v18, 3, 0
	v_and_or_b32 v18, v74, s3, v11
	v_mov_b32_e32 v53, v19
	v_pk_add_f32 v[14:15], v[12:13], v[16:17] neg_lo:[0,1] neg_hi:[0,1]
	v_pk_add_f32 v[16:17], v[28:29], v[54:55] neg_lo:[0,1] neg_hi:[0,1]
	;; [unrolled: 1-line block ×3, first 2 shown]
	v_mov_b32_e32 v51, v21
	v_lshl_add_u32 v43, v18, 3, 0
	v_and_or_b32 v18, v75, s2, v11
	v_pk_add_f32 v[22:23], v[36:37], v[52:53] neg_lo:[0,1] neg_hi:[0,1]
	v_and_or_b32 v32, v76, s2, v11
	v_and_or_b32 v11, v7, s2, v11
	v_pk_fma_f32 v[24:25], v[28:29], 2.0, v[16:17] op_sel_hi:[1,0,1] neg_lo:[0,0,1] neg_hi:[0,0,1]
	v_pk_fma_f32 v[28:29], v[30:31], 2.0, v[26:27] op_sel_hi:[1,0,1] neg_lo:[0,0,1] neg_hi:[0,0,1]
	v_pk_add_f32 v[20:21], v[38:39], v[50:51] neg_lo:[0,1] neg_hi:[0,1]
	v_pk_fma_f32 v[30:31], v[36:37], 2.0, v[22:23] op_sel_hi:[1,0,1] neg_lo:[0,0,1] neg_hi:[0,0,1]
	v_lshl_add_u32 v45, v32, 3, 0
	v_lshl_add_u32 v11, v11, 3, 0
	v_pk_add_f32 v[32:33], v[46:47], v[60:61] neg_lo:[0,1] neg_hi:[0,1]
	v_pk_add_f32 v[34:35], v[48:49], v[34:35] neg_lo:[0,1] neg_hi:[0,1]
	v_pk_fma_f32 v[12:13], v[12:13], 2.0, v[14:15] op_sel_hi:[1,0,1] neg_lo:[0,0,1] neg_hi:[0,0,1]
	v_lshl_add_u32 v44, v18, 3, 0
	v_pk_fma_f32 v[18:19], v[38:39], 2.0, v[20:21] op_sel_hi:[1,0,1] neg_lo:[0,0,1] neg_hi:[0,0,1]
	v_pk_fma_f32 v[36:37], v[46:47], 2.0, v[32:33] op_sel_hi:[1,0,1] neg_lo:[0,0,1] neg_hi:[0,0,1]
	;; [unrolled: 1-line block ×3, first 2 shown]
	ds_write2_b64 v40, v[30:31], v[22:23] offset1:2
	ds_write2_b64 v41, v[18:19], v[20:21] offset1:2
	;; [unrolled: 1-line block ×7, first 2 shown]
	v_and_b32_e32 v11, 3, v56
	v_lshlrev_b32_e32 v12, 3, v11
	s_waitcnt lgkmcnt(0)
	; wave barrier
	s_waitcnt lgkmcnt(0)
	global_load_dwordx2 v[28:29], v12, s[4:5] offset:16
	ds_read2_b64 v[12:15], v10 offset0:16 offset1:72
	ds_read2_b64 v[16:19], v9 offset0:48 offset1:104
	ds_read2_b64 v[20:23], v10 offset0:128 offset1:184
	ds_read2_b64 v[24:27], v9 offset0:160 offset1:216
	s_movk_i32 s2, 0x78
	s_movk_i32 s3, 0x2f8
	s_waitcnt vmcnt(0) lgkmcnt(3)
	v_pk_mul_f32 v[30:31], v[28:29], v[14:15] op_sel:[0,1]
	s_nop 0
	v_pk_fma_f32 v[32:33], v[28:29], v[14:15], v[30:31] op_sel:[0,0,1] op_sel_hi:[1,1,0] neg_lo:[0,0,1] neg_hi:[0,0,1]
	v_pk_fma_f32 v[30:31], v[28:29], v[14:15], v[30:31] op_sel:[0,0,1] op_sel_hi:[1,0,0]
	s_waitcnt lgkmcnt(1)
	v_pk_mul_f32 v[14:15], v[22:23], v[28:29] op_sel:[0,1]
	v_mov_b32_e32 v33, v31
	v_pk_fma_f32 v[34:35], v[22:23], v[28:29], v[14:15] op_sel:[0,0,1] op_sel_hi:[1,1,0] neg_lo:[0,0,1] neg_hi:[0,0,1]
	v_pk_fma_f32 v[36:37], v[22:23], v[28:29], v[14:15] op_sel:[0,0,1] op_sel_hi:[1,0,0]
	v_pk_mul_f32 v[14:15], v[20:21], v[28:29] op_sel:[0,1]
	v_mov_b32_e32 v35, v37
	v_pk_fma_f32 v[38:39], v[20:21], v[28:29], v[14:15] op_sel:[0,0,1] op_sel_hi:[1,1,0] neg_lo:[0,0,1] neg_hi:[0,0,1]
	v_pk_fma_f32 v[40:41], v[20:21], v[28:29], v[14:15] op_sel:[0,0,1] op_sel_hi:[1,0,0]
	v_pk_mul_f32 v[14:15], v[28:29], v[12:13] op_sel:[0,1]
	v_pk_mul_f32 v[20:21], v[28:29], v[18:19] op_sel:[0,1]
	v_pk_fma_f32 v[42:43], v[28:29], v[12:13], v[14:15] op_sel:[0,0,1] op_sel_hi:[1,1,0] neg_lo:[0,0,1] neg_hi:[0,0,1]
	v_pk_fma_f32 v[44:45], v[28:29], v[12:13], v[14:15] op_sel:[0,0,1] op_sel_hi:[1,0,0]
	s_waitcnt lgkmcnt(0)
	v_pk_mul_f32 v[12:13], v[28:29], v[26:27] op_sel:[0,1]
	v_pk_fma_f32 v[52:53], v[28:29], v[18:19], v[20:21] op_sel:[0,0,1] op_sel_hi:[1,1,0] neg_lo:[0,0,1] neg_hi:[0,0,1]
	v_pk_fma_f32 v[46:47], v[28:29], v[26:27], v[12:13] op_sel:[0,0,1] op_sel_hi:[1,1,0] neg_lo:[0,0,1] neg_hi:[0,0,1]
	v_pk_fma_f32 v[26:27], v[28:29], v[26:27], v[12:13] op_sel:[0,0,1] op_sel_hi:[1,0,0]
	v_pk_mul_f32 v[12:13], v[28:29], v[24:25] op_sel:[0,1]
	v_pk_fma_f32 v[54:55], v[28:29], v[18:19], v[20:21] op_sel:[0,0,1] op_sel_hi:[1,0,0]
	v_pk_fma_f32 v[48:49], v[28:29], v[24:25], v[12:13] op_sel:[0,0,1] op_sel_hi:[1,1,0] neg_lo:[0,0,1] neg_hi:[0,0,1]
	v_pk_fma_f32 v[50:51], v[28:29], v[24:25], v[12:13] op_sel:[0,0,1] op_sel_hi:[1,0,0]
	ds_read2_b64 v[12:15], v8 offset0:192 offset1:248
	v_pk_mul_f32 v[18:19], v[28:29], v[16:17] op_sel:[0,1]
	v_mov_b32_e32 v39, v41
	v_pk_fma_f32 v[60:61], v[28:29], v[16:17], v[18:19] op_sel:[0,0,1] op_sel_hi:[1,1,0] neg_lo:[0,0,1] neg_hi:[0,0,1]
	v_pk_fma_f32 v[62:63], v[28:29], v[16:17], v[18:19] op_sel:[0,0,1] op_sel_hi:[1,0,0]
	s_waitcnt lgkmcnt(0)
	v_pk_mul_f32 v[16:17], v[28:29], v[14:15] op_sel:[0,1]
	v_mov_b32_e32 v61, v63
	v_pk_fma_f32 v[18:19], v[28:29], v[14:15], v[16:17] op_sel:[0,0,1] op_sel_hi:[1,1,0] neg_lo:[0,0,1] neg_hi:[0,0,1]
	v_pk_fma_f32 v[20:21], v[28:29], v[14:15], v[16:17] op_sel:[0,0,1] op_sel_hi:[1,0,0]
	ds_read2_b64 v[14:17], v70 offset1:56
	v_mov_b32_e32 v19, v21
	v_and_or_b32 v20, v68, s2, v11
	v_lshl_add_u32 v26, v20, 3, 0
	s_movk_i32 s2, 0xf8
	s_waitcnt lgkmcnt(0)
	v_pk_add_f32 v[28:29], v[14:15], v[18:19] neg_lo:[0,1] neg_hi:[0,1]
	ds_read_b64 v[64:65], v4
	ds_read_b64 v[66:67], v1
	ds_read2_b64 v[18:21], v8 offset0:80 offset1:136
	ds_read2_b64 v[22:25], v70 offset0:112 offset1:168
	v_pk_fma_f32 v[14:15], v[14:15], 2.0, v[28:29] op_sel_hi:[1,0,1] neg_lo:[0,0,1] neg_hi:[0,0,1]
	s_waitcnt lgkmcnt(0)
	; wave barrier
	s_waitcnt lgkmcnt(0)
	ds_write2_b64 v26, v[14:15], v[28:29] offset1:4
	v_pk_add_f32 v[14:15], v[16:17], v[60:61] neg_lo:[0,1] neg_hi:[0,1]
	v_and_or_b32 v26, v69, s2, v11
	v_pk_fma_f32 v[16:17], v[16:17], 2.0, v[14:15] op_sel_hi:[1,0,1] neg_lo:[0,0,1] neg_hi:[0,0,1]
	v_lshl_add_u32 v26, v26, 3, 0
	s_movk_i32 s2, 0x1f8
	ds_write2_b64 v26, v[16:17], v[14:15] offset1:4
	v_and_or_b32 v26, v71, s2, v11
	v_lshl_add_u32 v40, v26, 3, 0
	v_and_or_b32 v26, v72, s2, v11
	s_movk_i32 s2, 0x3f8
	v_lshl_add_u32 v41, v26, 3, 0
	v_and_or_b32 v26, v73, s2, v11
	v_lshl_add_u32 v44, v26, 3, 0
	v_and_or_b32 v26, v74, s3, v11
	v_mov_b32_e32 v53, v55
	v_pk_add_f32 v[16:17], v[18:19], v[32:33] neg_lo:[0,1] neg_hi:[0,1]
	v_mov_b32_e32 v43, v45
	v_mov_b32_e32 v47, v27
	;; [unrolled: 1-line block ×3, first 2 shown]
	v_lshl_add_u32 v45, v26, 3, 0
	v_and_or_b32 v26, v75, s2, v11
	v_pk_add_f32 v[30:31], v[22:23], v[52:53] neg_lo:[0,1] neg_hi:[0,1]
	v_and_or_b32 v32, v76, s2, v11
	v_and_or_b32 v11, v7, s2, v11
	v_pk_add_f32 v[14:15], v[12:13], v[34:35] neg_lo:[0,1] neg_hi:[0,1]
	v_pk_add_f32 v[28:29], v[20:21], v[38:39] neg_lo:[0,1] neg_hi:[0,1]
	v_lshl_add_u32 v50, v26, 3, 0
	v_pk_add_f32 v[26:27], v[24:25], v[48:49] neg_lo:[0,1] neg_hi:[0,1]
	v_pk_fma_f32 v[22:23], v[22:23], 2.0, v[30:31] op_sel_hi:[1,0,1] neg_lo:[0,0,1] neg_hi:[0,0,1]
	v_lshl_add_u32 v48, v32, 3, 0
	v_lshl_add_u32 v11, v11, 3, 0
	v_pk_add_f32 v[32:33], v[64:65], v[42:43] neg_lo:[0,1] neg_hi:[0,1]
	v_pk_add_f32 v[36:37], v[66:67], v[46:47] neg_lo:[0,1] neg_hi:[0,1]
	v_pk_fma_f32 v[12:13], v[12:13], 2.0, v[14:15] op_sel_hi:[1,0,1] neg_lo:[0,0,1] neg_hi:[0,0,1]
	v_pk_fma_f32 v[18:19], v[18:19], 2.0, v[16:17] op_sel_hi:[1,0,1] neg_lo:[0,0,1] neg_hi:[0,0,1]
	;; [unrolled: 1-line block ×6, first 2 shown]
	ds_write2_b64 v40, v[22:23], v[30:31] offset1:4
	ds_write2_b64 v41, v[24:25], v[26:27] offset1:4
	;; [unrolled: 1-line block ×7, first 2 shown]
	v_and_b32_e32 v11, 7, v56
	v_lshlrev_b32_e32 v12, 3, v11
	s_waitcnt lgkmcnt(0)
	; wave barrier
	s_waitcnt lgkmcnt(0)
	global_load_dwordx2 v[28:29], v12, s[4:5] offset:48
	ds_read2_b64 v[12:15], v10 offset0:16 offset1:72
	ds_read2_b64 v[16:19], v9 offset0:48 offset1:104
	;; [unrolled: 1-line block ×4, first 2 shown]
	s_movk_i32 s2, 0x70
	s_movk_i32 s3, 0x2f0
	s_waitcnt vmcnt(0) lgkmcnt(3)
	v_pk_mul_f32 v[30:31], v[28:29], v[14:15] op_sel:[0,1]
	s_nop 0
	v_pk_fma_f32 v[32:33], v[28:29], v[14:15], v[30:31] op_sel:[0,0,1] op_sel_hi:[1,1,0] neg_lo:[0,0,1] neg_hi:[0,0,1]
	v_pk_fma_f32 v[14:15], v[28:29], v[14:15], v[30:31] op_sel:[0,0,1] op_sel_hi:[1,0,0]
	s_waitcnt lgkmcnt(2)
	v_pk_mul_f32 v[42:43], v[28:29], v[18:19] op_sel:[0,1]
	v_mov_b32_e32 v33, v15
	s_waitcnt lgkmcnt(0)
	v_pk_mul_f32 v[14:15], v[26:27], v[28:29] op_sel:[0,1]
	v_pk_fma_f32 v[44:45], v[28:29], v[18:19], v[42:43] op_sel:[0,0,1] op_sel_hi:[1,1,0] neg_lo:[0,0,1] neg_hi:[0,0,1]
	v_pk_fma_f32 v[30:31], v[26:27], v[28:29], v[14:15] op_sel:[0,0,1] op_sel_hi:[1,1,0] neg_lo:[0,0,1] neg_hi:[0,0,1]
	v_pk_fma_f32 v[14:15], v[26:27], v[28:29], v[14:15] op_sel:[0,0,1] op_sel_hi:[1,0,0]
	v_pk_fma_f32 v[42:43], v[28:29], v[18:19], v[42:43] op_sel:[0,0,1] op_sel_hi:[1,0,0]
	v_mov_b32_e32 v31, v15
	v_pk_mul_f32 v[14:15], v[24:25], v[28:29] op_sel:[0,1]
	v_pk_mul_f32 v[18:19], v[28:29], v[16:17] op_sel:[0,1]
	v_pk_fma_f32 v[26:27], v[24:25], v[28:29], v[14:15] op_sel:[0,0,1] op_sel_hi:[1,1,0] neg_lo:[0,0,1] neg_hi:[0,0,1]
	v_pk_fma_f32 v[24:25], v[24:25], v[28:29], v[14:15] op_sel:[0,0,1] op_sel_hi:[1,0,0]
	v_pk_mul_f32 v[14:15], v[28:29], v[12:13] op_sel:[0,1]
	v_pk_fma_f32 v[46:47], v[28:29], v[16:17], v[18:19] op_sel:[0,0,1] op_sel_hi:[1,1,0] neg_lo:[0,0,1] neg_hi:[0,0,1]
	v_pk_fma_f32 v[34:35], v[28:29], v[12:13], v[14:15] op_sel:[0,0,1] op_sel_hi:[1,1,0] neg_lo:[0,0,1] neg_hi:[0,0,1]
	v_pk_fma_f32 v[36:37], v[28:29], v[12:13], v[14:15] op_sel:[0,0,1] op_sel_hi:[1,0,0]
	v_pk_mul_f32 v[12:13], v[28:29], v[22:23] op_sel:[0,1]
	v_pk_fma_f32 v[48:49], v[28:29], v[16:17], v[18:19] op_sel:[0,0,1] op_sel_hi:[1,0,0]
	v_pk_fma_f32 v[38:39], v[28:29], v[22:23], v[12:13] op_sel:[0,0,1] op_sel_hi:[1,1,0] neg_lo:[0,0,1] neg_hi:[0,0,1]
	v_pk_fma_f32 v[22:23], v[28:29], v[22:23], v[12:13] op_sel:[0,0,1] op_sel_hi:[1,0,0]
	v_pk_mul_f32 v[12:13], v[28:29], v[20:21] op_sel:[0,1]
	ds_read2_b64 v[16:19], v8 offset0:80 offset1:136
	v_pk_fma_f32 v[40:41], v[28:29], v[20:21], v[12:13] op_sel:[0,0,1] op_sel_hi:[1,1,0] neg_lo:[0,0,1] neg_hi:[0,0,1]
	v_pk_fma_f32 v[20:21], v[28:29], v[20:21], v[12:13] op_sel:[0,0,1] op_sel_hi:[1,0,0]
	ds_read2_b64 v[12:15], v8 offset0:192 offset1:248
	v_and_or_b32 v47, v74, s3, v11
	v_mov_b32_e32 v41, v21
	v_mov_b32_e32 v45, v43
	;; [unrolled: 1-line block ×3, first 2 shown]
	s_waitcnt lgkmcnt(0)
	v_pk_mul_f32 v[50:51], v[28:29], v[14:15] op_sel:[0,1]
	v_pk_add_f32 v[30:31], v[12:13], v[30:31] neg_lo:[0,1] neg_hi:[0,1]
	v_pk_fma_f32 v[52:53], v[28:29], v[14:15], v[50:51] op_sel:[0,0,1] op_sel_hi:[1,1,0] neg_lo:[0,0,1] neg_hi:[0,0,1]
	v_pk_fma_f32 v[28:29], v[28:29], v[14:15], v[50:51] op_sel:[0,0,1] op_sel_hi:[1,0,0]
	v_pk_fma_f32 v[50:51], v[12:13], 2.0, v[30:31] op_sel_hi:[1,0,1] neg_lo:[0,0,1] neg_hi:[0,0,1]
	v_and_or_b32 v12, v68, s2, v11
	s_movk_i32 s2, 0xf0
	v_and_or_b32 v20, v69, s2, v11
	s_movk_i32 s2, 0x1f0
	v_and_or_b32 v22, v71, s2, v11
	v_and_or_b32 v28, v72, s2, v11
	s_movk_i32 s2, 0x3f0
	v_and_or_b32 v42, v73, s2, v11
	v_and_or_b32 v48, v75, s2, v11
	;; [unrolled: 1-line block ×4, first 2 shown]
	v_lshl_add_u32 v11, v12, 3, 0
	ds_read2_b64 v[12:15], v70 offset0:112 offset1:168
	v_pk_add_f32 v[24:25], v[16:17], v[32:33] neg_lo:[0,1] neg_hi:[0,1]
	v_lshl_add_u32 v55, v20, 3, 0
	v_mov_b32_e32 v35, v37
	v_mov_b32_e32 v39, v23
	s_waitcnt lgkmcnt(0)
	v_pk_add_f32 v[20:21], v[14:15], v[40:41] neg_lo:[0,1] neg_hi:[0,1]
	v_pk_add_f32 v[32:33], v[12:13], v[44:45] neg_lo:[0,1] neg_hi:[0,1]
	v_lshl_add_u32 v60, v22, 3, 0
	v_pk_fma_f32 v[22:23], v[14:15], 2.0, v[20:21] op_sel_hi:[1,0,1] neg_lo:[0,0,1] neg_hi:[0,0,1]
	v_pk_fma_f32 v[36:37], v[12:13], 2.0, v[32:33] op_sel_hi:[1,0,1] neg_lo:[0,0,1] neg_hi:[0,0,1]
	ds_read2_b64 v[12:15], v70 offset1:56
	v_lshl_add_u32 v62, v42, 3, 0
	ds_read_b64 v[42:43], v4
	ds_read_b64 v[44:45], v1
	v_mov_b32_e32 v53, v29
	v_lshl_add_u32 v61, v28, 3, 0
	v_lshl_add_u32 v63, v47, 3, 0
	v_mov_b32_e32 v47, v49
	s_waitcnt lgkmcnt(2)
	v_pk_add_f32 v[28:29], v[12:13], v[52:53] neg_lo:[0,1] neg_hi:[0,1]
	v_pk_add_f32 v[26:27], v[18:19], v[26:27] neg_lo:[0,1] neg_hi:[0,1]
	;; [unrolled: 1-line block ×3, first 2 shown]
	v_pk_fma_f32 v[12:13], v[12:13], 2.0, v[28:29] op_sel_hi:[1,0,1] neg_lo:[0,0,1] neg_hi:[0,0,1]
	v_lshl_add_u32 v7, v7, 3, 0
	s_waitcnt lgkmcnt(1)
	v_pk_add_f32 v[34:35], v[42:43], v[34:35] neg_lo:[0,1] neg_hi:[0,1]
	s_waitcnt lgkmcnt(0)
	v_pk_add_f32 v[38:39], v[44:45], v[38:39] neg_lo:[0,1] neg_hi:[0,1]
	v_pk_fma_f32 v[16:17], v[16:17], 2.0, v[24:25] op_sel_hi:[1,0,1] neg_lo:[0,0,1] neg_hi:[0,0,1]
	v_pk_fma_f32 v[18:19], v[18:19], 2.0, v[26:27] op_sel_hi:[1,0,1] neg_lo:[0,0,1] neg_hi:[0,0,1]
	v_lshl_add_u32 v48, v48, 3, 0
	v_pk_fma_f32 v[14:15], v[14:15], 2.0, v[40:41] op_sel_hi:[1,0,1] neg_lo:[0,0,1] neg_hi:[0,0,1]
	v_lshl_add_u32 v46, v54, 3, 0
	v_pk_fma_f32 v[42:43], v[42:43], 2.0, v[34:35] op_sel_hi:[1,0,1] neg_lo:[0,0,1] neg_hi:[0,0,1]
	v_pk_fma_f32 v[44:45], v[44:45], 2.0, v[38:39] op_sel_hi:[1,0,1] neg_lo:[0,0,1] neg_hi:[0,0,1]
	s_waitcnt lgkmcnt(0)
	; wave barrier
	ds_write2_b64 v11, v[12:13], v[28:29] offset1:8
	ds_write2_b64 v55, v[14:15], v[40:41] offset1:8
	;; [unrolled: 1-line block ×9, first 2 shown]
	v_and_b32_e32 v7, 15, v6
	v_lshlrev_b32_e32 v11, 4, v7
	v_and_b32_e32 v71, 15, v0
	s_waitcnt lgkmcnt(0)
	; wave barrier
	s_waitcnt lgkmcnt(0)
	v_lshlrev_b32_e32 v20, 4, v71
	global_load_dwordx4 v[12:15], v11, s[4:5] offset:112
	global_load_dwordx4 v[16:19], v20, s[4:5] offset:112
	v_lshlrev_b32_e32 v11, 4, v78
	global_load_dwordx4 v[20:23], v11, s[4:5] offset:112
	v_lshlrev_b32_e32 v11, 4, v79
	global_load_dwordx4 v[24:27], v11, s[4:5] offset:112
	ds_read2_b64 v[28:31], v9 offset0:104 offset1:160
	v_add_u32_e32 v72, 0xc00, v70
	v_add_u32_e32 v11, 0x1400, v70
	s_mov_b32 s2, 0x3f5db3d7
	s_waitcnt vmcnt(3)
	v_mov_b32_e32 v41, v14
	s_waitcnt vmcnt(2) lgkmcnt(0)
	v_pk_mul_f32 v[32:33], v[28:29], v[16:17] op_sel:[0,1]
	v_mov_b32_e32 v40, v13
	v_pk_fma_f32 v[42:43], v[28:29], v[16:17], v[32:33] op_sel:[0,0,1] op_sel_hi:[1,1,0] neg_lo:[0,0,1] neg_hi:[0,0,1]
	v_pk_fma_f32 v[28:29], v[28:29], v[16:17], v[32:33] op_sel:[0,0,1] op_sel_hi:[1,0,0]
	ds_read_b64 v[16:17], v70 offset:7616
	ds_read2_b64 v[32:35], v72 offset0:120 offset1:176
	ds_read_b64 v[44:45], v1
	ds_read_b64 v[46:47], v4
	v_mov_b32_e32 v14, v19
	ds_read2_b32 v[72:73], v72 offset0:128 offset1:129
	v_mov_b32_e32 v43, v29
	s_waitcnt lgkmcnt(4)
	v_pk_mul_f32 v[36:37], v[16:17], v[14:15] op_sel_hi:[1,0]
	v_mov_b32_e32 v14, v41
	v_pk_fma_f32 v[48:49], v[16:17], v[18:19], v[36:37] op_sel:[0,0,1] op_sel_hi:[1,1,0] neg_lo:[0,0,1] neg_hi:[0,0,1]
	v_pk_fma_f32 v[50:51], v[16:17], v[18:19], v[36:37] op_sel:[0,0,1] op_sel_hi:[1,0,0]
	s_waitcnt lgkmcnt(3)
	v_pk_mul_f32 v[16:17], v[32:33], v[40:41] op_sel_hi:[1,0]
	ds_read2_b64 v[36:39], v11 offset0:88 offset1:144
	v_pk_fma_f32 v[52:53], v[32:33], v[12:13], v[16:17] op_sel:[0,0,1] op_sel_hi:[1,1,0] neg_lo:[0,0,1] neg_hi:[0,0,1]
	v_pk_fma_f32 v[32:33], v[32:33], v[12:13], v[16:17] op_sel:[0,0,1] op_sel_hi:[1,0,0]
	ds_read2_b64 v[16:19], v8 offset0:80 offset1:136
	s_waitcnt vmcnt(1)
	v_pk_mul_f32 v[12:13], v[34:35], v[20:21] op_sel:[0,1]
	v_mov_b32_e32 v53, v33
	v_pk_fma_f32 v[54:55], v[34:35], v[20:21], v[12:13] op_sel:[0,0,1] op_sel_hi:[1,1,0] neg_lo:[0,0,1] neg_hi:[0,0,1]
	v_pk_fma_f32 v[34:35], v[34:35], v[20:21], v[12:13] op_sel:[0,0,1] op_sel_hi:[1,0,0]
	s_waitcnt vmcnt(0) lgkmcnt(0)
	v_pk_mul_f32 v[12:13], v[24:25], v[18:19] op_sel:[0,1]
	v_mov_b32_e32 v55, v35
	v_pk_fma_f32 v[60:61], v[24:25], v[18:19], v[12:13] op_sel:[0,0,1] op_sel_hi:[1,1,0] neg_lo:[0,0,1] neg_hi:[0,0,1]
	v_pk_fma_f32 v[62:63], v[24:25], v[18:19], v[12:13] op_sel:[0,0,1] op_sel_hi:[1,0,0]
	v_pk_mul_f32 v[12:13], v[26:27], v[36:37] op_sel:[0,1]
	v_mov_b32_e32 v61, v63
	v_pk_fma_f32 v[64:65], v[26:27], v[36:37], v[12:13] op_sel:[0,0,1] op_sel_hi:[1,1,0] neg_lo:[0,0,1] neg_hi:[0,0,1]
	v_pk_fma_f32 v[36:37], v[26:27], v[36:37], v[12:13] op_sel:[0,0,1] op_sel_hi:[1,0,0]
	ds_read2_b64 v[24:27], v10 offset0:72 offset1:128
	v_pk_mul_f32 v[12:13], v[22:23], v[30:31] op_sel:[0,1]
	v_mov_b32_e32 v65, v37
	v_pk_fma_f32 v[18:19], v[22:23], v[30:31], v[12:13] op_sel:[0,0,1] op_sel_hi:[1,1,0] neg_lo:[0,0,1] neg_hi:[0,0,1]
	v_pk_fma_f32 v[30:31], v[22:23], v[30:31], v[12:13] op_sel:[0,0,1] op_sel_hi:[1,0,0]
	v_mov_b32_e32 v12, v15
	s_waitcnt lgkmcnt(0)
	v_pk_mul_f32 v[12:13], v[24:25], v[12:13] op_sel_hi:[1,0]
	v_mov_b32_e32 v19, v31
	v_pk_fma_f32 v[66:67], v[24:25], v[14:15], v[12:13] op_sel:[0,0,1] op_sel_hi:[1,1,0] neg_lo:[0,0,1] neg_hi:[0,0,1]
	v_pk_fma_f32 v[24:25], v[24:25], v[40:41], v[12:13] op_sel:[0,1,1] op_sel_hi:[1,1,0]
	v_mov_b32_e32 v12, v23
	v_pk_mul_f32 v[14:15], v[26:27], v[12:13] op_sel_hi:[1,0]
	v_pk_mul_f32 v[12:13], v[38:39], v[12:13] op_sel_hi:[1,0]
	v_pk_fma_f32 v[40:41], v[26:27], v[22:23], v[14:15] op_sel:[0,0,1] op_sel_hi:[1,1,0] neg_lo:[0,0,1] neg_hi:[0,0,1]
	v_pk_fma_f32 v[26:27], v[26:27], v[22:23], v[14:15] op_sel:[0,0,1] op_sel_hi:[1,0,0]
	v_pk_mul_f32 v[14:15], v[20:21], v[16:17] op_sel:[0,1]
	v_pk_fma_f32 v[74:75], v[38:39], v[22:23], v[12:13] op_sel:[0,0,1] op_sel_hi:[1,1,0] neg_lo:[0,0,1] neg_hi:[0,0,1]
	v_pk_fma_f32 v[22:23], v[38:39], v[22:23], v[12:13] op_sel:[0,0,1] op_sel_hi:[1,0,0]
	v_mov_b32_e32 v12, v73
	v_pk_fma_f32 v[68:69], v[20:21], v[16:17], v[14:15] op_sel:[0,0,1] op_sel_hi:[1,1,0] neg_lo:[0,0,1] neg_hi:[0,0,1]
	v_pk_fma_f32 v[16:17], v[20:21], v[16:17], v[14:15] op_sel:[0,0,1] op_sel_hi:[1,0,0]
	v_pk_mul_f32 v[38:39], v[12:13], v[20:21] op_sel_hi:[0,1]
	ds_read2_b64 v[12:15], v70 offset1:56
	v_mov_b32_e32 v69, v17
	v_pk_fma_f32 v[76:77], v[20:21], v[72:73], v[38:39] op_sel:[0,0,1] op_sel_hi:[1,1,0] neg_lo:[0,0,1] neg_hi:[0,0,1]
	v_pk_fma_f32 v[20:21], v[20:21], v[72:73], v[38:39] op_sel:[0,0,1] op_sel_hi:[1,0,0]
	v_mov_b32_e32 v75, v23
	s_waitcnt lgkmcnt(0)
	v_pk_add_f32 v[16:17], v[12:13], v[68:69]
	v_mov_b32_e32 v77, v21
	v_pk_add_f32 v[30:31], v[16:17], v[18:19]
	v_pk_add_f32 v[16:17], v[68:69], v[18:19]
	v_pk_add_f32 v[18:19], v[68:69], v[18:19] neg_lo:[0,1] neg_hi:[0,1]
	v_pk_fma_f32 v[12:13], v[16:17], 0.5, v[12:13] op_sel_hi:[1,0,1] neg_lo:[1,0,0] neg_hi:[1,0,0]
	v_pk_mul_f32 v[16:17], v[18:19], s[2:3] op_sel_hi:[1,0]
	v_mov_b32_e32 v67, v25
	v_pk_add_f32 v[38:39], v[12:13], v[16:17] op_sel:[0,1] op_sel_hi:[1,0]
	v_pk_add_f32 v[12:13], v[12:13], v[16:17] op_sel:[0,1] op_sel_hi:[1,0] neg_lo:[0,1] neg_hi:[0,1]
	v_lshrrev_b32_e32 v16, 4, v56
	v_mul_u32_u24_e32 v16, 48, v16
	v_or_b32_e32 v16, v16, v78
	v_lshl_add_u32 v20, v16, 3, 0
	v_mov_b32_e32 v68, v38
	v_mov_b32_e32 v69, v13
	;; [unrolled: 1-line block ×3, first 2 shown]
	ds_read2_b64 v[16:19], v70 offset0:112 offset1:168
	s_waitcnt lgkmcnt(0)
	; wave barrier
	s_waitcnt lgkmcnt(0)
	ds_write2_b64 v20, v[30:31], v[68:69] offset1:16
	ds_write_b64 v20, v[12:13] offset:256
	v_pk_add_f32 v[12:13], v[60:61], v[64:65]
	v_pk_add_f32 v[30:31], v[60:61], v[64:65] neg_lo:[0,1] neg_hi:[0,1]
	v_pk_fma_f32 v[12:13], v[12:13], 0.5, v[14:15] op_sel_hi:[1,0,1] neg_lo:[1,0,0] neg_hi:[1,0,0]
	v_pk_mul_f32 v[30:31], v[30:31], s[2:3] op_sel_hi:[1,0]
	v_lshrrev_b32_e32 v20, 4, v5
	v_pk_add_f32 v[36:37], v[12:13], v[30:31] op_sel:[0,1] op_sel_hi:[1,0]
	v_pk_add_f32 v[12:13], v[12:13], v[30:31] op_sel:[0,1] op_sel_hi:[1,0] neg_lo:[0,1] neg_hi:[0,1]
	v_mul_u32_u24_e32 v20, 48, v20
	v_mov_b32_e32 v31, v13
	v_lshrrev_b32_e32 v13, 4, v57
	v_mul_u32_u24_e32 v13, 48, v13
	v_or_b32_e32 v13, v13, v78
	v_lshl_add_u32 v29, v13, 3, 0
	v_lshrrev_b32_e32 v13, 4, v6
	v_mul_u32_u24_e32 v13, 48, v13
	v_or_b32_e32 v7, v13, v7
	v_lshrrev_b32_e32 v13, 4, v2
	v_pk_add_f32 v[14:15], v[14:15], v[60:61]
	v_or_b32_e32 v20, v20, v79
	v_mul_lo_u32 v13, v13, 48
	v_pk_add_f32 v[14:15], v[14:15], v[64:65]
	v_lshl_add_u32 v28, v20, 3, 0
	v_mov_b32_e32 v30, v36
	v_or_b32_e32 v13, v13, v78
	ds_write2_b64 v28, v[14:15], v[30:31] offset1:16
	v_lshl_add_u32 v30, v13, 3, 0
	v_lshrrev_b32_e32 v13, 4, v0
	v_mul_lo_u32 v13, v13, 48
	v_or_b32_e32 v13, v13, v71
	v_lshl_add_u32 v31, v13, 3, 0
	v_mov_b32_e32 v13, v37
	ds_write_b64 v28, v[12:13] offset:256
	v_pk_add_f32 v[12:13], v[76:77], v[74:75]
	v_pk_add_f32 v[24:25], v[16:17], v[76:77]
	v_pk_fma_f32 v[12:13], v[12:13], 0.5, v[16:17] op_sel_hi:[1,0,1] neg_lo:[1,0,0] neg_hi:[1,0,0]
	v_pk_add_f32 v[16:17], v[76:77], v[74:75] neg_lo:[0,1] neg_hi:[0,1]
	v_mov_b32_e32 v41, v27
	v_pk_add_f32 v[26:27], v[44:45], v[54:55]
	v_pk_mul_f32 v[16:17], v[16:17], s[2:3] op_sel_hi:[1,0]
	v_pk_add_f32 v[22:23], v[24:25], v[74:75]
	v_pk_add_f32 v[24:25], v[26:27], v[40:41]
	v_pk_add_f32 v[26:27], v[12:13], v[16:17] op_sel:[0,1] op_sel_hi:[1,0]
	v_pk_add_f32 v[12:13], v[12:13], v[16:17] op_sel:[0,1] op_sel_hi:[1,0] neg_lo:[0,1] neg_hi:[0,1]
	v_mov_b32_e32 v16, v26
	v_mov_b32_e32 v17, v13
	;; [unrolled: 1-line block ×3, first 2 shown]
	ds_write2_b64 v29, v[22:23], v[16:17] offset1:16
	ds_write_b64 v29, v[12:13] offset:256
	v_pk_add_f32 v[12:13], v[52:53], v[66:67]
	v_pk_add_f32 v[16:17], v[52:53], v[66:67] neg_lo:[0,1] neg_hi:[0,1]
	v_pk_fma_f32 v[12:13], v[12:13], 0.5, v[18:19] op_sel_hi:[1,0,1] neg_lo:[1,0,0] neg_hi:[1,0,0]
	v_pk_mul_f32 v[16:17], v[16:17], s[2:3] op_sel_hi:[1,0]
	v_pk_add_f32 v[20:21], v[18:19], v[52:53]
	v_pk_add_f32 v[18:19], v[12:13], v[16:17] op_sel:[0,1] op_sel_hi:[1,0]
	v_pk_add_f32 v[12:13], v[12:13], v[16:17] op_sel:[0,1] op_sel_hi:[1,0] neg_lo:[0,1] neg_hi:[0,1]
	v_lshl_add_u32 v7, v7, 3, 0
	v_pk_add_f32 v[20:21], v[20:21], v[66:67]
	v_mov_b32_e32 v16, v18
	v_mov_b32_e32 v17, v13
	;; [unrolled: 1-line block ×3, first 2 shown]
	ds_write2_b64 v7, v[20:21], v[16:17] offset1:16
	ds_write_b64 v7, v[12:13] offset:256
	v_pk_add_f32 v[12:13], v[54:55], v[40:41]
	v_pk_add_f32 v[16:17], v[54:55], v[40:41] neg_lo:[0,1] neg_hi:[0,1]
	v_pk_fma_f32 v[12:13], v[12:13], 0.5, v[44:45] op_sel_hi:[1,0,1] neg_lo:[1,0,0] neg_hi:[1,0,0]
	v_pk_mul_f32 v[16:17], v[16:17], s[2:3] op_sel_hi:[1,0]
	v_mov_b32_e32 v49, v51
	v_pk_add_f32 v[18:19], v[12:13], v[16:17] op_sel:[0,1] op_sel_hi:[1,0]
	v_pk_add_f32 v[12:13], v[12:13], v[16:17] op_sel:[0,1] op_sel_hi:[1,0] neg_lo:[0,1] neg_hi:[0,1]
	v_mov_b32_e32 v16, v18
	v_mov_b32_e32 v17, v13
	;; [unrolled: 1-line block ×3, first 2 shown]
	ds_write2_b64 v30, v[24:25], v[16:17] offset1:16
	ds_write_b64 v30, v[12:13] offset:256
	v_pk_add_f32 v[12:13], v[42:43], v[48:49]
	v_pk_add_f32 v[16:17], v[42:43], v[48:49] neg_lo:[0,1] neg_hi:[0,1]
	v_pk_fma_f32 v[12:13], v[12:13], 0.5, v[46:47] op_sel_hi:[1,0,1] neg_lo:[1,0,0] neg_hi:[1,0,0]
	v_pk_mul_f32 v[16:17], v[16:17], s[2:3] op_sel_hi:[1,0]
	s_movk_i32 s3, 0xab
	v_pk_add_f32 v[18:19], v[12:13], v[16:17] op_sel:[0,1] op_sel_hi:[1,0]
	v_pk_add_f32 v[12:13], v[12:13], v[16:17] op_sel:[0,1] op_sel_hi:[1,0] neg_lo:[0,1] neg_hi:[0,1]
	v_pk_add_f32 v[14:15], v[46:47], v[42:43]
	v_mov_b32_e32 v17, v13
	v_mov_b32_e32 v13, v19
	ds_write_b64 v31, v[12:13] offset:256
	v_mul_lo_u16_sdwa v12, v6, s3 dst_sel:DWORD dst_unused:UNUSED_PAD src0_sel:BYTE_0 src1_sel:DWORD
	v_lshrrev_b16_e32 v66, 13, v12
	v_mul_lo_u16_e32 v12, 48, v66
	v_mov_b32_e32 v7, 4
	v_sub_u16_e32 v67, v6, v12
	v_pk_add_f32 v[14:15], v[14:15], v[48:49]
	v_mov_b32_e32 v16, v18
	v_lshlrev_b32_sdwa v6, v7, v67 dst_sel:DWORD dst_unused:UNUSED_PAD src0_sel:DWORD src1_sel:BYTE_0
	ds_write2_b64 v31, v[14:15], v[16:17] offset1:16
	s_waitcnt lgkmcnt(0)
	; wave barrier
	s_waitcnt lgkmcnt(0)
	global_load_dwordx4 v[12:15], v6, s[4:5] offset:368
	v_mul_lo_u16_sdwa v6, v57, s3 dst_sel:DWORD dst_unused:UNUSED_PAD src0_sel:BYTE_0 src1_sel:DWORD
	v_mul_lo_u16_sdwa v20, v5, s3 dst_sel:DWORD dst_unused:UNUSED_PAD src0_sel:BYTE_0 src1_sel:DWORD
	v_lshrrev_b16_e32 v68, 13, v6
	v_lshrrev_b16_e32 v71, 13, v20
	v_mul_lo_u16_e32 v6, 48, v68
	v_mul_lo_u16_e32 v20, 48, v71
	v_sub_u16_e32 v69, v57, v6
	v_sub_u16_e32 v72, v5, v20
	s_mov_b32 s3, 0xaaab
	v_lshlrev_b32_sdwa v6, v7, v69 dst_sel:DWORD dst_unused:UNUSED_PAD src0_sel:DWORD src1_sel:BYTE_0
	v_lshlrev_b32_sdwa v5, v7, v72 dst_sel:DWORD dst_unused:UNUSED_PAD src0_sel:DWORD src1_sel:BYTE_0
	v_mov_b32_e32 v7, v3
	v_mul_u32_u24_sdwa v3, v2, s3 dst_sel:DWORD dst_unused:UNUSED_PAD src0_sel:WORD_0 src1_sel:DWORD
	v_lshrrev_b32_e32 v74, 21, v3
	global_load_dwordx4 v[16:19], v6, s[4:5] offset:368
	v_mul_lo_u16_e32 v3, 48, v74
	v_sub_u16_e32 v75, v2, v3
	v_lshlrev_b32_e32 v2, 4, v75
	global_load_dwordx4 v[28:31], v2, s[4:5] offset:368
	v_subrev_u32_e32 v6, 48, v56
	v_cndmask_b32_e32 v73, v6, v56, vcc
	global_load_dwordx4 v[20:23], v5, s[4:5] offset:368
	v_lshlrev_b32_e32 v6, 1, v73
	v_lshl_add_u64 v[6:7], v[6:7], 3, s[4:5]
	global_load_dwordx4 v[24:27], v[6:7], off offset:368
	v_mul_u32_u24_sdwa v2, v0, s3 dst_sel:DWORD dst_unused:UNUSED_PAD src0_sel:WORD_0 src1_sel:DWORD
	v_lshrrev_b32_e32 v76, 21, v2
	v_mul_lo_u16_e32 v2, 48, v76
	v_sub_u16_e32 v77, v0, v2
	v_lshlrev_b32_e32 v0, 4, v77
	global_load_dwordx4 v[32:35], v0, s[4:5] offset:368
	ds_read2_b64 v[36:39], v8 offset0:192 offset1:248
	ds_read2_b64 v[40:43], v8 offset0:80 offset1:136
	;; [unrolled: 1-line block ×3, first 2 shown]
	ds_read_b64 v[4:5], v4
	v_cmp_lt_u32_e32 vcc, 47, v56
	s_waitcnt vmcnt(5) lgkmcnt(3)
	v_pk_mul_f32 v[2:3], v[38:39], v[12:13] op_sel:[0,1]
	v_mov_b32_e32 v0, v15
	v_pk_fma_f32 v[6:7], v[38:39], v[12:13], v[2:3] op_sel:[0,0,1] op_sel_hi:[1,1,0] neg_lo:[0,0,1] neg_hi:[0,0,1]
	v_pk_fma_f32 v[2:3], v[38:39], v[12:13], v[2:3] op_sel:[0,0,1] op_sel_hi:[1,0,0]
	s_waitcnt lgkmcnt(1)
	v_pk_mul_f32 v[12:13], v[46:47], v[0:1] op_sel_hi:[1,0]
	v_mov_b32_e32 v7, v3
	v_pk_fma_f32 v[38:39], v[46:47], v[14:15], v[12:13] op_sel:[0,0,1] op_sel_hi:[1,1,0] neg_lo:[0,0,1] neg_hi:[0,0,1]
	v_pk_fma_f32 v[46:47], v[46:47], v[14:15], v[12:13] op_sel:[0,0,1] op_sel_hi:[1,0,0]
	s_waitcnt vmcnt(4)
	v_pk_mul_f32 v[12:13], v[36:37], v[16:17] op_sel:[0,1]
	s_nop 0
	v_pk_fma_f32 v[48:49], v[36:37], v[16:17], v[12:13] op_sel:[0,0,1] op_sel_hi:[1,1,0] neg_lo:[0,0,1] neg_hi:[0,0,1]
	v_pk_fma_f32 v[36:37], v[36:37], v[16:17], v[12:13] op_sel:[0,0,1] op_sel_hi:[1,0,0]
	ds_read2_b64 v[12:15], v9 offset0:160 offset1:216
	v_mov_b32_e32 v0, v19
	v_pk_mul_f32 v[16:17], v[44:45], v[0:1] op_sel_hi:[1,0]
	s_waitcnt vmcnt(3)
	v_mov_b32_e32 v0, v31
	v_pk_fma_f32 v[50:51], v[44:45], v[18:19], v[16:17] op_sel:[0,0,1] op_sel_hi:[1,1,0] neg_lo:[0,0,1] neg_hi:[0,0,1]
	v_pk_fma_f32 v[44:45], v[44:45], v[18:19], v[16:17] op_sel:[0,0,1] op_sel_hi:[1,0,0]
	s_waitcnt vmcnt(2)
	v_pk_mul_f32 v[16:17], v[20:21], v[42:43] op_sel:[0,1]
	s_waitcnt vmcnt(1) lgkmcnt(0)
	v_pk_mul_f32 v[18:19], v[26:27], v[12:13] op_sel:[0,1]
	v_pk_fma_f32 v[52:53], v[20:21], v[42:43], v[16:17] op_sel:[0,0,1] op_sel_hi:[1,1,0] neg_lo:[0,0,1] neg_hi:[0,0,1]
	v_pk_fma_f32 v[42:43], v[20:21], v[42:43], v[16:17] op_sel:[0,0,1] op_sel_hi:[1,0,0]
	v_pk_mul_f32 v[16:17], v[22:23], v[14:15] op_sel:[0,1]
	v_mov_b32_e32 v39, v47
	v_pk_fma_f32 v[54:55], v[22:23], v[14:15], v[16:17] op_sel:[0,0,1] op_sel_hi:[1,1,0] neg_lo:[0,0,1] neg_hi:[0,0,1]
	v_pk_fma_f32 v[22:23], v[22:23], v[14:15], v[16:17] op_sel:[0,0,1] op_sel_hi:[1,0,0]
	v_pk_mul_f32 v[14:15], v[24:25], v[40:41] op_sel:[0,1]
	v_mov_b32_e32 v49, v37
	v_pk_fma_f32 v[60:61], v[24:25], v[40:41], v[14:15] op_sel:[0,0,1] op_sel_hi:[1,1,0] neg_lo:[0,0,1] neg_hi:[0,0,1]
	v_pk_fma_f32 v[24:25], v[24:25], v[40:41], v[14:15] op_sel:[0,0,1] op_sel_hi:[1,0,0]
	ds_read2_b64 v[14:17], v9 offset0:48 offset1:104
	v_pk_fma_f32 v[40:41], v[26:27], v[12:13], v[18:19] op_sel:[0,0,1] op_sel_hi:[1,1,0] neg_lo:[0,0,1] neg_hi:[0,0,1]
	v_pk_fma_f32 v[26:27], v[26:27], v[12:13], v[18:19] op_sel:[0,0,1] op_sel_hi:[1,0,0]
	ds_read2_b64 v[18:21], v10 offset0:128 offset1:184
	v_mov_b32_e32 v51, v45
	s_waitcnt lgkmcnt(1)
	v_pk_mul_f32 v[12:13], v[14:15], v[28:29] op_sel:[0,1]
	v_pk_add_f32 v[2:3], v[48:49], v[50:51]
	v_pk_fma_f32 v[62:63], v[14:15], v[28:29], v[12:13] op_sel:[0,0,1] op_sel_hi:[1,1,0] neg_lo:[0,0,1] neg_hi:[0,0,1]
	v_pk_fma_f32 v[28:29], v[14:15], v[28:29], v[12:13] op_sel:[0,0,1] op_sel_hi:[1,0,0]
	s_waitcnt lgkmcnt(0)
	v_pk_mul_f32 v[12:13], v[18:19], v[0:1] op_sel_hi:[1,0]
	s_waitcnt vmcnt(0)
	v_mov_b32_e32 v0, v35
	v_pk_fma_f32 v[64:65], v[18:19], v[30:31], v[12:13] op_sel:[0,0,1] op_sel_hi:[1,1,0] neg_lo:[0,0,1] neg_hi:[0,0,1]
	v_pk_fma_f32 v[18:19], v[18:19], v[30:31], v[12:13] op_sel:[0,0,1] op_sel_hi:[1,0,0]
	v_pk_mul_f32 v[12:13], v[16:17], v[32:33] op_sel:[0,1]
	v_mov_b32_e32 v61, v25
	v_pk_fma_f32 v[30:31], v[16:17], v[32:33], v[12:13] op_sel:[0,0,1] op_sel_hi:[1,0,0]
	v_pk_fma_f32 v[16:17], v[16:17], v[32:33], v[12:13] op_sel:[0,0,1] op_sel_hi:[1,0,0] neg_lo:[0,0,1] neg_hi:[0,0,1]
	v_pk_mul_f32 v[12:13], v[20:21], v[0:1] op_sel_hi:[1,0]
	v_mov_b32_e32 v41, v27
	v_pk_fma_f32 v[32:33], v[20:21], v[34:35], v[12:13] op_sel:[0,0,1] op_sel_hi:[1,0,0]
	v_pk_fma_f32 v[20:21], v[20:21], v[34:35], v[12:13] op_sel:[0,0,1] op_sel_hi:[1,0,0] neg_lo:[0,0,1] neg_hi:[0,0,1]
	ds_read2_b64 v[12:15], v70 offset0:112 offset1:168
	v_pk_add_f32 v[34:35], v[6:7], v[38:39]
	v_mov_b32_e32 v55, v23
	v_pk_add_f32 v[22:23], v[60:61], v[40:41]
	v_pk_add_f32 v[26:27], v[60:61], v[40:41] neg_lo:[0,1] neg_hi:[0,1]
	s_waitcnt lgkmcnt(0)
	v_pk_fma_f32 v[2:3], v[2:3], 0.5, v[12:13] op_sel_hi:[1,0,1] neg_lo:[1,0,0] neg_hi:[1,0,0]
	v_pk_fma_f32 v[34:35], v[34:35], 0.5, v[14:15] op_sel_hi:[1,0,1] neg_lo:[1,0,0] neg_hi:[1,0,0]
	v_pk_add_f32 v[36:37], v[14:15], v[6:7]
	v_pk_add_f32 v[44:45], v[12:13], v[48:49]
	ds_read2_b64 v[12:15], v70 offset1:56
	v_mov_b32_e32 v53, v43
	v_pk_mul_f32 v[26:27], v[26:27], s[2:3] op_sel_hi:[1,0]
	v_pk_add_f32 v[24:25], v[52:53], v[54:55]
	v_pk_add_f32 v[36:37], v[36:37], v[38:39]
	s_waitcnt lgkmcnt(0)
	v_pk_fma_f32 v[22:23], v[22:23], 0.5, v[12:13] op_sel_hi:[1,0,1] neg_lo:[1,0,0] neg_hi:[1,0,0]
	v_pk_add_f32 v[12:13], v[12:13], v[60:61]
	v_pk_fma_f32 v[24:25], v[24:25], 0.5, v[14:15] op_sel_hi:[1,0,1] neg_lo:[1,0,0] neg_hi:[1,0,0]
	v_pk_add_f32 v[12:13], v[12:13], v[40:41]
	v_pk_add_f32 v[40:41], v[22:23], v[26:27] op_sel:[0,1] op_sel_hi:[1,0]
	v_pk_add_f32 v[22:23], v[22:23], v[26:27] op_sel:[0,1] op_sel_hi:[1,0] neg_lo:[0,1] neg_hi:[0,1]
	v_pk_add_f32 v[26:27], v[52:53], v[54:55] neg_lo:[0,1] neg_hi:[0,1]
	v_mov_b32_e32 v63, v29
	v_pk_mul_f32 v[26:27], v[26:27], s[2:3] op_sel_hi:[1,0]
	v_mov_b32_e32 v65, v19
	v_pk_add_f32 v[42:43], v[24:25], v[26:27] op_sel:[0,1] op_sel_hi:[1,0]
	v_pk_add_f32 v[24:25], v[24:25], v[26:27] op_sel:[0,1] op_sel_hi:[1,0] neg_lo:[0,1] neg_hi:[0,1]
	v_pk_add_f32 v[26:27], v[44:45], v[50:51]
	v_pk_add_f32 v[44:45], v[48:49], v[50:51] neg_lo:[0,1] neg_hi:[0,1]
	v_pk_add_f32 v[14:15], v[14:15], v[52:53]
	v_pk_mul_f32 v[44:45], v[44:45], s[2:3] op_sel_hi:[1,0]
	v_pk_add_f32 v[14:15], v[14:15], v[54:55]
	v_pk_add_f32 v[46:47], v[2:3], v[44:45] op_sel:[0,1] op_sel_hi:[1,0]
	v_pk_add_f32 v[44:45], v[2:3], v[44:45] op_sel:[0,1] op_sel_hi:[1,0] neg_lo:[0,1] neg_hi:[0,1]
	v_pk_add_f32 v[2:3], v[6:7], v[38:39] neg_lo:[0,1] neg_hi:[0,1]
	ds_read_b64 v[38:39], v1
	v_pk_mul_f32 v[2:3], v[2:3], s[2:3] op_sel_hi:[1,0]
	v_pk_add_f32 v[0:1], v[62:63], v[64:65]
	v_pk_add_f32 v[6:7], v[34:35], v[2:3] op_sel:[0,1] op_sel_hi:[1,0]
	v_pk_add_f32 v[34:35], v[34:35], v[2:3] op_sel:[0,1] op_sel_hi:[1,0] neg_lo:[0,1] neg_hi:[0,1]
	v_pk_add_f32 v[2:3], v[62:63], v[64:65] neg_lo:[0,1] neg_hi:[0,1]
	s_waitcnt lgkmcnt(0)
	v_pk_fma_f32 v[0:1], v[0:1], 0.5, v[38:39] op_sel_hi:[1,0,1] neg_lo:[1,0,0] neg_hi:[1,0,0]
	v_pk_mul_f32 v[2:3], v[2:3], s[2:3] op_sel_hi:[1,0]
	s_nop 0
	v_pk_add_f32 v[18:19], v[0:1], v[2:3] op_sel:[0,1] op_sel_hi:[1,0] neg_lo:[0,1] neg_hi:[0,1]
	v_pk_add_f32 v[28:29], v[0:1], v[2:3] op_sel:[0,1] op_sel_hi:[1,0]
	v_mov_b32_e32 v0, 0x480
	v_cndmask_b32_e32 v0, 0, v0, vcc
	v_lshlrev_b32_e32 v1, 3, v73
	v_add3_u32 v30, 0, v0, v1
	v_mov_b32_e32 v1, 3
	v_mul_u32_u24_e32 v0, 0x480, v71
	v_lshlrev_b32_sdwa v2, v1, v72 dst_sel:DWORD dst_unused:UNUSED_PAD src0_sel:DWORD src1_sel:BYTE_0
	v_add3_u32 v32, 0, v0, v2
	v_mul_u32_u24_e32 v0, 0x480, v68
	v_lshlrev_b32_sdwa v2, v1, v69 dst_sel:DWORD dst_unused:UNUSED_PAD src0_sel:DWORD src1_sel:BYTE_0
	v_add3_u32 v48, 0, v0, v2
	v_lshlrev_b32_sdwa v0, v1, v67 dst_sel:DWORD dst_unused:UNUSED_PAD src0_sel:DWORD src1_sel:BYTE_0
	v_mul_u32_u24_e32 v1, 0x480, v66
	v_add3_u32 v49, 0, v1, v0
	v_mov_b32_e32 v0, v40
	v_mov_b32_e32 v1, v23
	; wave barrier
	ds_write2_b64 v30, v[12:13], v[0:1] offset1:48
	v_mov_b32_e32 v23, v41
	v_mov_b32_e32 v12, v42
	v_mov_b32_e32 v13, v25
	ds_write_b64 v30, v[22:23] offset:768
	ds_write2_b64 v32, v[14:15], v[12:13] offset1:48
	v_mov_b32_e32 v25, v43
	v_mov_b32_e32 v12, v46
	;; [unrolled: 1-line block ×3, first 2 shown]
	s_movk_i32 s3, 0x480
	ds_write_b64 v32, v[24:25] offset:768
	ds_write2_b64 v48, v[26:27], v[12:13] offset1:48
	v_mov_b32_e32 v45, v47
	v_mov_b32_e32 v12, v6
	;; [unrolled: 1-line block ×3, first 2 shown]
	v_perm_b32 v6, v76, v74, s6
	ds_write_b64 v48, v[44:45] offset:768
	ds_write2_b64 v49, v[36:37], v[12:13] offset1:48
	v_pk_mul_lo_u16 v12, v6, s3 op_sel_hi:[1,0]
	v_mov_b32_e32 v35, v7
	v_and_b32_e32 v6, 0xff80, v12
	v_lshlrev_b32_e32 v7, 3, v75
	v_add3_u32 v13, 0, v6, v7
	v_pk_add_f32 v[6:7], v[38:39], v[62:63]
	v_mov_b32_e32 v1, v29
	v_pk_add_f32 v[6:7], v[6:7], v[64:65]
	v_mov_b32_e32 v29, v19
	v_mov_b32_e32 v17, v31
	;; [unrolled: 1-line block ×4, first 2 shown]
	ds_write_b64 v49, v[34:35] offset:768
	ds_write2_b64 v13, v[6:7], v[28:29] offset1:48
	ds_write_b64 v13, v[0:1] offset:768
	v_lshrrev_b32_e32 v6, 16, v12
	v_lshlrev_b32_e32 v7, 3, v77
	v_add3_u32 v14, 0, v6, v7
	v_pk_add_f32 v[6:7], v[16:17], v[20:21]
	v_pk_add_f32 v[2:3], v[4:5], v[16:17]
	v_pk_fma_f32 v[4:5], v[6:7], 0.5, v[4:5] op_sel_hi:[1,0,1] neg_lo:[1,0,0] neg_hi:[1,0,0]
	v_pk_add_f32 v[6:7], v[16:17], v[20:21] neg_lo:[0,1] neg_hi:[0,1]
	v_pk_add_f32 v[2:3], v[2:3], v[20:21]
	v_pk_mul_f32 v[12:13], v[6:7], s[2:3] op_sel_hi:[1,0]
	v_cmp_gt_u32_e32 vcc, 32, v56
	v_pk_add_f32 v[6:7], v[4:5], v[12:13] op_sel:[0,1] op_sel_hi:[1,0]
	v_pk_add_f32 v[4:5], v[4:5], v[12:13] op_sel:[0,1] op_sel_hi:[1,0] neg_lo:[0,1] neg_hi:[0,1]
	v_mov_b32_e32 v60, v6
	v_mov_b32_e32 v61, v5
	;; [unrolled: 1-line block ×3, first 2 shown]
	ds_write2_b64 v14, v[2:3], v[60:61] offset1:48
	ds_write_b64 v14, v[6:7] offset:768
	s_waitcnt lgkmcnt(0)
	; wave barrier
	s_waitcnt lgkmcnt(0)
	ds_read2_b64 v[12:15], v70 offset1:56
	ds_read2_b64 v[32:35], v70 offset0:144 offset1:200
	ds_read2_b64 v[20:23], v8 offset0:32 offset1:88
	;; [unrolled: 1-line block ×6, first 2 shown]
	v_cmp_lt_u32_e64 s[2:3], 31, v56
                                        ; implicit-def: $vgpr66_vgpr67
                                        ; implicit-def: $vgpr64_vgpr65
                                        ; implicit-def: $vgpr62_vgpr63
	s_and_saveexec_b64 s[6:7], s[2:3]
	s_xor_b64 s[2:3], exec, s[6:7]
; %bb.18:
	v_mov_b32_e32 v62, v5
	v_mov_b64_e32 v[66:67], v[6:7]
	v_mov_b64_e32 v[64:65], v[60:61]
; %bb.19:
	s_or_saveexec_b64 s[2:3], s[2:3]
                                        ; implicit-def: $vgpr8
                                        ; implicit-def: $vgpr68
	s_xor_b64 exec, exec, s[2:3]
	s_cbranch_execz .LBB0_21
; %bb.20:
	v_add_u32_e32 v1, 0xc00, v70
	ds_read2_b64 v[4:7], v1 offset0:16 offset1:160
	v_add_u32_e32 v0, 0x200, v70
	v_add_u32_e32 v1, 0x1400, v70
	ds_read2_b64 v[8:11], v1 offset0:48 offset1:192
	ds_read2_b64 v[0:3], v0 offset0:48 offset1:192
	ds_read_b64 v[68:69], v70 offset:7808
	s_waitcnt lgkmcnt(3)
	v_mov_b32_e32 v62, v5
	v_mov_b32_e32 v64, v4
	s_waitcnt lgkmcnt(2)
	v_mov_b32_e32 v65, v9
	v_mov_b32_e32 v66, v10
	;; [unrolled: 1-line block ×7, first 2 shown]
.LBB0_21:
	s_or_b64 exec, exec, s[2:3]
	v_mul_u32_u24_e32 v9, 6, v56
	v_lshlrev_b32_e32 v9, 3, v9
	global_load_dwordx4 v[52:55], v9, s[4:5] offset:1136
	global_load_dwordx4 v[48:51], v9, s[4:5] offset:1152
	global_load_dwordx4 v[44:47], v9, s[4:5] offset:3824
	global_load_dwordx4 v[40:43], v9, s[4:5] offset:3840
	global_load_dwordx4 v[72:75], v9, s[4:5] offset:3856
	global_load_dwordx4 v[76:79], v9, s[4:5] offset:1168
	s_waitcnt lgkmcnt(4)
	v_mov_b32_e32 v82, v20
	s_waitcnt lgkmcnt(2)
	v_mov_b32_e32 v83, v29
	v_mov_b32_e32 v80, v21
	;; [unrolled: 1-line block ×5, first 2 shown]
	s_waitcnt lgkmcnt(1)
	v_mov_b32_e32 v90, v24
	v_mov_b32_e32 v91, v17
	s_waitcnt lgkmcnt(0)
	v_mov_b32_e32 v88, v37
	v_mov_b32_e32 v92, v25
	;; [unrolled: 1-line block ×6, first 2 shown]
	s_mov_b32 s6, 0x3eae86e6
	s_mov_b32 s7, 0xbf08b237
	;; [unrolled: 1-line block ×3, first 2 shown]
	v_mov_b32_e32 v95, v18
	s_mov_b32 s8, s7
	s_mov_b32 s9, s6
	;; [unrolled: 1-line block ×9, first 2 shown]
	s_waitcnt lgkmcnt(0)
	; wave barrier
	s_waitcnt vmcnt(5)
	v_mov_b32_e32 v98, v55
	s_waitcnt vmcnt(4)
	v_mov_b32_e32 v99, v51
	v_pk_mul_f32 v[96:97], v[52:53], v[32:33] op_sel_hi:[1,0]
	v_mul_f32_e32 v9, v55, v21
	v_mov_b32_e32 v100, v54
	v_mov_b32_e32 v101, v50
	v_pk_mul_f32 v[82:83], v[98:99], v[82:83]
	s_waitcnt vmcnt(3)
	v_pk_mul_f32 v[102:103], v[46:47], v[22:23]
	v_pk_mul_f32 v[104:105], v[44:45], v[34:35] op_sel_hi:[1,0]
	s_waitcnt vmcnt(1)
	v_pk_mul_f32 v[108:109], v[38:39], v[74:75] op_sel_hi:[1,0]
	v_mov_b32_e32 v74, v75
	v_mul_f32_e32 v99, v48, v17
	v_pk_fma_f32 v[110:111], v[52:53], v[10:11], v[96:97] op_sel:[0,0,1] op_sel_hi:[1,1,0]
	v_pk_fma_f32 v[32:33], v[52:53], v[32:33], v[96:97] op_sel:[0,1,1] op_sel_hi:[1,1,0] neg_lo:[1,0,0] neg_hi:[1,0,0]
	v_fma_f32 v98, v54, v20, -v9
	v_pk_fma_f32 v[52:53], v[54:55], v[80:81], v[82:83]
	v_mov_b32_e32 v17, v48
	s_waitcnt vmcnt(0)
	v_mov_b32_e32 v48, v77
	v_pk_fma_f32 v[54:55], v[100:101], v[80:81], v[82:83] neg_lo:[0,0,1] neg_hi:[0,0,1]
	v_mov_b32_e32 v10, v75
	v_pk_mul_f32 v[82:83], v[78:79], v[36:37] op_sel_hi:[1,0]
	v_mul_f32_e32 v81, v49, v16
	v_pk_mul_f32 v[48:49], v[48:49], v[90:91]
	v_pk_fma_f32 v[34:35], v[44:45], v[34:35], v[104:105] op_sel:[0,1,1] op_sel_hi:[1,1,0] neg_lo:[1,0,0] neg_hi:[1,0,0]
	v_mov_b32_e32 v16, v76
	v_mul_f32_e32 v9, v77, v25
	v_pk_fma_f32 v[44:45], v[44:45], v[84:85], v[104:105] op_sel:[0,0,1] op_sel_hi:[1,1,0]
	v_pk_fma_f32 v[74:75], v[38:39], v[74:75], v[108:109] op_sel:[0,0,1] op_sel_hi:[1,1,0]
	v_pk_fma_f32 v[38:39], v[38:39], v[10:11], v[108:109] op_sel:[0,0,1] op_sel_hi:[1,0,0] neg_lo:[1,0,0] neg_hi:[1,0,0]
	v_pk_mul_f32 v[84:85], v[26:27], v[72:73]
	v_pk_fma_f32 v[36:37], v[78:79], v[36:37], v[82:83] op_sel:[0,1,1] op_sel_hi:[1,1,0] neg_lo:[1,0,0] neg_hi:[1,0,0]
	v_mov_b32_e32 v89, v40
	v_mov_b32_e32 v10, v103
	v_mul_f32_e32 v21, v31, v42
	v_mul_f32_e32 v29, v50, v29
	;; [unrolled: 1-line block ×4, first 2 shown]
	v_pk_fma_f32 v[78:79], v[78:79], v[88:89], v[82:83] op_sel:[0,0,1] op_sel_hi:[1,1,0]
	v_fma_f32 v80, v76, v24, -v9
	v_mov_b32_e32 v20, v85
	v_pk_fma_f32 v[82:83], v[46:47], v[22:23], v[10:11] neg_lo:[0,0,1] neg_hi:[0,0,1]
	v_mov_b32_e32 v23, v31
	v_pk_fma_f32 v[16:17], v[16:17], v[92:93], v[48:49] neg_lo:[0,0,1] neg_hi:[0,0,1]
	v_pk_fma_f32 v[30:31], v[76:77], v[92:93], v[48:49]
	v_mov_b32_e32 v28, v33
	v_mov_b32_e32 v50, v37
	v_pk_fma_f32 v[48:49], v[26:27], v[72:73], v[20:21] neg_lo:[0,0,1] neg_hi:[0,0,1]
	v_mov_b32_e32 v27, v19
	v_mov_b32_e32 v111, v33
	;; [unrolled: 1-line block ×3, first 2 shown]
	v_mul_f32_e32 v83, v19, v40
	v_mov_b32_e32 v40, v73
	v_mov_b32_e32 v53, v55
	;; [unrolled: 1-line block ×3, first 2 shown]
	v_pk_add_f32 v[28:29], v[28:29], v[50:51]
	v_pk_add_f32 v[36:37], v[98:99], v[80:81]
	v_mov_b32_e32 v107, v42
	v_mov_b32_e32 v42, v47
	v_mul_f32_e32 v38, v18, v41
	v_pk_add_f32 v[32:33], v[110:111], v[78:79]
	v_pk_mul_f32 v[26:27], v[26:27], v[40:41]
	v_pk_add_f32 v[40:41], v[52:53], v[30:31]
	v_pk_add_f32 v[30:31], v[52:53], v[30:31] neg_lo:[0,1] neg_hi:[0,1]
	v_mov_b32_e32 v51, v98
	v_mov_b32_e32 v50, v29
	;; [unrolled: 1-line block ×4, first 2 shown]
	v_pk_mul_f32 v[22:23], v[42:43], v[22:23]
	v_pk_add_f32 v[42:43], v[110:111], v[78:79] neg_lo:[0,1] neg_hi:[0,1]
	v_pk_add_f32 v[50:51], v[50:51], v[52:53] neg_lo:[0,1] neg_hi:[0,1]
	v_mov_b32_e32 v16, v17
	v_mov_b32_e32 v17, v40
	;; [unrolled: 1-line block ×6, first 2 shown]
	v_pk_add_f32 v[16:17], v[16:17], v[54:55]
	v_pk_add_f32 v[76:77], v[36:37], v[28:29]
	v_mov_b32_e32 v18, v42
	v_mov_b32_e32 v19, v31
	v_pk_add_f32 v[52:53], v[52:53], v[30:31] neg_lo:[0,1] neg_hi:[0,1]
	v_mov_b32_e32 v78, v16
	v_mov_b32_e32 v79, v32
	;; [unrolled: 1-line block ×6, first 2 shown]
	v_pk_add_f32 v[18:19], v[18:19], v[50:51] neg_lo:[0,1] neg_hi:[0,1]
	v_pk_mul_f32 v[52:53], v[52:53], s[8:9]
	v_pk_add_f32 v[78:79], v[78:79], v[36:37] neg_lo:[0,1] neg_hi:[0,1]
	v_pk_add_f32 v[80:81], v[28:29], v[80:81] neg_lo:[0,1] neg_hi:[0,1]
	v_pk_add_f32 v[16:17], v[76:77], v[16:17]
	v_mov_b32_e32 v106, v46
	v_pk_add_f32 v[54:55], v[30:31], v[50:51]
	v_mov_b32_e32 v88, v72
	v_pk_add_f32 v[12:13], v[12:13], v[16:17]
	v_pk_mul_f32 v[76:77], v[78:79], s[12:13]
	v_pk_fma_f32 v[84:85], v[18:19], s[6:7], v[52:53]
	v_mov_b32_e32 v45, v35
	v_mov_b32_e32 v20, v35
	v_pk_mul_f32 v[18:19], v[18:19], s[6:7]
	v_pk_mul_f32 v[34:35], v[80:81], s[10:11]
	v_mov_b32_e32 v31, v51
	v_mov_b32_e32 v37, v40
	v_mov_b32_e32 v29, v32
	v_pk_fma_f32 v[46:47], v[46:47], v[86:87], v[22:23]
	v_pk_fma_f32 v[22:23], v[106:107], v[86:87], v[22:23] neg_lo:[0,0,1] neg_hi:[0,0,1]
	v_pk_add_f32 v[54:55], v[54:55], v[42:43]
	v_pk_fma_f32 v[72:73], v[94:95], v[72:73], v[26:27]
	v_pk_fma_f32 v[26:27], v[94:95], v[88:89], v[26:27] neg_lo:[0,0,1] neg_hi:[0,0,1]
	v_pk_fma_f32 v[16:17], v[16:17], s[18:19], v[12:13] op_sel_hi:[1,0,1] neg_lo:[1,0,0] neg_hi:[1,0,0]
	v_pk_fma_f32 v[78:79], v[80:81], s[10:11], v[76:77]
	v_pk_add_f32 v[30:31], v[30:31], v[42:43] neg_lo:[0,1] neg_hi:[0,1]
	v_pk_add_f32 v[28:29], v[36:37], v[28:29] neg_lo:[0,1] neg_hi:[0,1]
	v_mov_b32_e32 v32, v34
	v_mov_b32_e32 v33, v77
	;; [unrolled: 1-line block ×5, first 2 shown]
	v_pk_add_f32 v[78:79], v[78:79], v[16:17]
	v_pk_fma_f32 v[84:85], v[54:55], s[2:3], v[84:85] op_sel_hi:[1,0,1]
	v_mov_b32_e32 v75, v39
	v_mov_b32_e32 v47, v23
	;; [unrolled: 1-line block ×5, first 2 shown]
	v_pk_fma_f32 v[32:33], v[28:29], s[16:17], v[32:33] op_sel_hi:[1,0,1] neg_lo:[1,0,1] neg_hi:[1,0,1]
	v_mov_b32_e32 v36, v18
	v_pk_fma_f32 v[28:29], v[28:29], s[16:17], v[76:77] op_sel_hi:[1,0,1] neg_lo:[0,0,1] neg_hi:[0,0,1]
	v_pk_fma_f32 v[18:19], v[30:31], s[14:15], v[52:53] op_sel_hi:[1,0,1] neg_lo:[0,0,1] neg_hi:[0,0,1]
	v_pk_add_f32 v[86:87], v[78:79], v[84:85]
	v_pk_add_f32 v[78:79], v[78:79], v[84:85] neg_lo:[0,1] neg_hi:[0,1]
	v_pk_add_f32 v[84:85], v[44:45], v[74:75]
	v_pk_add_f32 v[44:45], v[44:45], v[74:75] neg_lo:[0,1] neg_hi:[0,1]
	v_pk_add_f32 v[74:75], v[46:47], v[72:73]
	v_pk_add_f32 v[20:21], v[20:21], v[24:25]
	v_pk_add_f32 v[24:25], v[82:83], v[48:49]
	v_pk_add_f32 v[32:33], v[32:33], v[16:17]
	v_pk_add_f32 v[16:17], v[28:29], v[16:17]
	v_pk_fma_f32 v[18:19], v[54:55], s[2:3], v[18:19] op_sel_hi:[1,0,1]
	v_mov_b32_e32 v39, v82
	v_mov_b32_e32 v38, v21
	;; [unrolled: 1-line block ×4, first 2 shown]
	v_pk_add_f32 v[28:29], v[16:17], v[18:19] neg_lo:[0,1] neg_hi:[0,1]
	v_pk_add_f32 v[16:17], v[16:17], v[18:19]
	v_mov_b32_e32 v26, v27
	v_mov_b32_e32 v27, v74
	;; [unrolled: 1-line block ×4, first 2 shown]
	v_pk_add_f32 v[38:39], v[38:39], v[48:49] neg_lo:[0,1] neg_hi:[0,1]
	v_mov_b32_e32 v18, v28
	v_mov_b32_e32 v19, v17
	;; [unrolled: 1-line block ×3, first 2 shown]
	v_pk_add_f32 v[28:29], v[24:25], v[20:21]
	v_pk_add_f32 v[22:23], v[26:27], v[22:23]
	v_pk_add_f32 v[46:47], v[46:47], v[72:73] neg_lo:[0,1] neg_hi:[0,1]
	v_mov_b32_e32 v42, v38
	v_mov_b32_e32 v43, v45
	v_pk_fma_f32 v[36:37], v[30:31], s[14:15], v[36:37] op_sel_hi:[1,0,1] neg_lo:[1,0,1] neg_hi:[1,0,1]
	v_mov_b32_e32 v26, v22
	v_mov_b32_e32 v27, v84
	;; [unrolled: 1-line block ×5, first 2 shown]
	v_pk_add_f32 v[42:43], v[42:43], v[46:47] neg_lo:[0,1] neg_hi:[0,1]
	v_pk_fma_f32 v[36:37], v[54:55], s[2:3], v[36:37] op_sel_hi:[1,0,1]
	v_pk_add_f32 v[26:27], v[26:27], v[24:25] neg_lo:[0,1] neg_hi:[0,1]
	v_mov_b32_e32 v21, v29
	v_mov_b32_e32 v30, v22
	;; [unrolled: 1-line block ×3, first 2 shown]
	v_pk_add_f32 v[22:23], v[28:29], v[22:23]
	v_pk_add_f32 v[48:49], v[48:49], v[38:39] neg_lo:[0,1] neg_hi:[0,1]
	v_pk_mul_f32 v[42:43], v[42:43], s[8:9]
	v_pk_add_f32 v[40:41], v[32:33], v[36:37]
	v_pk_add_f32 v[32:33], v[32:33], v[36:37] neg_lo:[0,1] neg_hi:[0,1]
	v_pk_add_f32 v[36:37], v[46:47], v[38:39]
	v_pk_add_f32 v[30:31], v[20:21], v[30:31] neg_lo:[0,1] neg_hi:[0,1]
	v_pk_add_f32 v[14:15], v[14:15], v[22:23]
	v_pk_mul_f32 v[26:27], v[26:27], s[12:13]
	v_pk_add_f32 v[36:37], v[36:37], v[44:45]
	v_mov_b32_e32 v72, v40
	v_mov_b32_e32 v73, v33
	v_mov_b32_e32 v33, v41
	v_pk_mul_f32 v[28:29], v[30:31], s[10:11]
	v_pk_fma_f32 v[22:23], v[22:23], s[18:19], v[14:15] op_sel_hi:[1,0,1] neg_lo:[1,0,0] neg_hi:[1,0,0]
	v_pk_fma_f32 v[30:31], v[30:31], s[10:11], v[26:27]
	v_pk_fma_f32 v[40:41], v[48:49], s[6:7], v[42:43]
	v_pk_add_f32 v[30:31], v[30:31], v[22:23]
	v_pk_fma_f32 v[40:41], v[36:37], s[2:3], v[40:41] op_sel_hi:[1,0,1]
	v_pk_mul_f32 v[50:51], v[48:49], s[6:7]
	v_pk_add_f32 v[48:49], v[30:31], v[40:41]
	v_pk_add_f32 v[30:31], v[30:31], v[40:41] neg_lo:[0,1] neg_hi:[0,1]
	v_mov_b32_e32 v34, v86
	v_mov_b32_e32 v35, v79
	ds_write2_b64 v70, v[12:13], v[14:15] offset1:56
	v_mov_b32_e32 v12, v48
	v_mov_b32_e32 v13, v31
	;; [unrolled: 1-line block ×5, first 2 shown]
	ds_write2_b64 v70, v[34:35], v[12:13] offset0:144 offset1:200
	v_pk_add_f32 v[12:13], v[46:47], v[44:45] neg_lo:[0,1] neg_hi:[0,1]
	v_pk_add_f32 v[14:15], v[24:25], v[20:21] neg_lo:[0,1] neg_hi:[0,1]
	v_mov_b32_e32 v20, v28
	v_mov_b32_e32 v21, v27
	;; [unrolled: 1-line block ×6, first 2 shown]
	v_pk_fma_f32 v[20:21], v[14:15], s[16:17], v[20:21] op_sel_hi:[1,0,1] neg_lo:[1,0,1] neg_hi:[1,0,1]
	v_pk_fma_f32 v[24:25], v[12:13], s[14:15], v[24:25] op_sel_hi:[1,0,1] neg_lo:[1,0,1] neg_hi:[1,0,1]
	;; [unrolled: 1-line block ×4, first 2 shown]
	v_pk_add_f32 v[20:21], v[20:21], v[22:23]
	v_pk_fma_f32 v[24:25], v[36:37], s[2:3], v[24:25] op_sel_hi:[1,0,1]
	v_pk_add_f32 v[14:15], v[14:15], v[22:23]
	v_pk_fma_f32 v[12:13], v[36:37], s[2:3], v[12:13] op_sel_hi:[1,0,1]
	v_pk_add_f32 v[34:35], v[20:21], v[24:25]
	v_pk_add_f32 v[20:21], v[20:21], v[24:25] neg_lo:[0,1] neg_hi:[0,1]
	v_pk_add_f32 v[22:23], v[14:15], v[12:13] neg_lo:[0,1] neg_hi:[0,1]
	v_pk_add_f32 v[12:13], v[14:15], v[12:13]
	v_mov_b32_e32 v24, v34
	v_mov_b32_e32 v25, v21
	v_add_u32_e32 v9, 0x800, v70
	v_mov_b32_e32 v14, v22
	v_mov_b32_e32 v15, v13
	ds_write2_b64 v9, v[72:73], v[24:25] offset0:32 offset1:88
	ds_write2_b64 v9, v[18:19], v[14:15] offset0:176 offset1:232
	v_mov_b32_e32 v13, v23
	v_add_u32_e32 v9, 0x1000, v70
	v_mov_b32_e32 v79, v87
	ds_write2_b64 v9, v[16:17], v[12:13] offset0:64 offset1:120
	v_mov_b32_e32 v21, v35
	v_add_u32_e32 v9, 0x1400, v70
	v_mov_b32_e32 v31, v49
	v_add_u32_e32 v10, 0x1800, v70
	ds_write2_b64 v9, v[32:33], v[20:21] offset0:80 offset1:136
	ds_write2_b64 v10, v[78:79], v[30:31] offset0:96 offset1:152
	s_and_saveexec_b64 s[18:19], vcc
	s_cbranch_execz .LBB0_23
; %bb.22:
	v_subrev_u32_e32 v10, 32, v56
	v_cndmask_b32_e32 v10, v10, v57, vcc
	v_mul_i32_i24_e32 v12, 6, v10
	v_mov_b32_e32 v13, 0
	v_lshl_add_u64 v[24:25], v[12:13], 3, s[4:5]
	global_load_dwordx4 v[12:15], v[24:25], off offset:1136
	global_load_dwordx4 v[16:19], v[24:25], off offset:1168
	;; [unrolled: 1-line block ×3, first 2 shown]
	v_mov_b32_e32 v28, v69
	v_mov_b32_e32 v10, v11
	;; [unrolled: 1-line block ×6, first 2 shown]
	s_mov_b32 s4, 0xbf955555
	v_add_u32_e32 v42, 0x200, v70
	s_waitcnt vmcnt(2)
	v_pk_mul_f32 v[30:31], v[2:3], v[12:13] op_sel_hi:[0,1]
	s_waitcnt vmcnt(1)
	v_pk_mul_f32 v[32:33], v[68:69], v[18:19] op_sel_hi:[0,1]
	v_mov_b32_e32 v36, v15
	s_waitcnt vmcnt(0)
	v_mov_b32_e32 v37, v23
	v_mov_b32_e32 v40, v17
	;; [unrolled: 1-line block ×3, first 2 shown]
	v_mul_f32_e32 v29, v5, v15
	v_mov_b32_e32 v34, v14
	v_mov_b32_e32 v35, v22
	;; [unrolled: 1-line block ×4, first 2 shown]
	v_mul_f32_e32 v43, v11, v17
	v_mul_f32_e32 v5, v4, v21
	;; [unrolled: 1-line block ×5, first 2 shown]
	v_pk_mul_f32 v[22:23], v[64:65], v[36:37]
	v_pk_mul_f32 v[36:37], v[66:67], v[40:41]
	v_fma_f32 v20, v60, v14, -v29
	v_pk_fma_f32 v[40:41], v[28:29], v[18:19], v[32:33] op_sel:[0,0,1] op_sel_hi:[0,1,0]
	v_pk_fma_f32 v[18:19], v[28:29], v[18:19], v[32:33] op_sel:[0,0,1] op_sel_hi:[0,1,0] neg_lo:[1,0,0] neg_hi:[1,0,0]
	v_pk_fma_f32 v[28:29], v[2:3], v[12:13], v[30:31] op_sel:[1,0,1] op_sel_hi:[1,1,0]
	v_pk_fma_f32 v[2:3], v[2:3], v[12:13], v[30:31] op_sel:[1,0,1] op_sel_hi:[1,1,0] neg_lo:[1,0,0] neg_hi:[1,0,0]
	v_fma_f32 v4, v6, v16, -v43
	v_pk_fma_f32 v[16:17], v[10:11], v[16:17], v[36:37]
	v_pk_fma_f32 v[24:25], v[24:25], v[38:39], v[36:37] neg_lo:[0,0,1] neg_hi:[0,0,1]
	v_pk_fma_f32 v[14:15], v[62:63], v[14:15], v[22:23]
	v_pk_fma_f32 v[22:23], v[26:27], v[34:35], v[22:23] neg_lo:[0,0,1] neg_hi:[0,0,1]
	v_mov_b32_e32 v10, v3
	v_mov_b32_e32 v6, v19
	v_pk_add_f32 v[12:13], v[20:21], v[4:5]
	v_mov_b32_e32 v41, v19
	v_mov_b32_e32 v29, v3
	;; [unrolled: 1-line block ×4, first 2 shown]
	v_pk_add_f32 v[6:7], v[10:11], v[6:7]
	v_mov_b32_e32 v3, v20
	v_mov_b32_e32 v5, v4
	v_pk_add_f32 v[18:19], v[28:29], v[40:41]
	v_mov_b32_e32 v4, v13
	v_mov_b32_e32 v10, v25
	v_pk_add_f32 v[24:25], v[14:15], v[16:17]
	v_mov_b32_e32 v2, v7
	v_pk_add_f32 v[20:21], v[28:29], v[40:41] neg_lo:[0,1] neg_hi:[0,1]
	v_mov_b32_e32 v22, v23
	v_mov_b32_e32 v23, v18
	v_pk_add_f32 v[2:3], v[2:3], v[4:5] neg_lo:[0,1] neg_hi:[0,1]
	v_mov_b32_e32 v11, v24
	v_pk_add_f32 v[14:15], v[14:15], v[16:17] neg_lo:[0,1] neg_hi:[0,1]
	v_mov_b32_e32 v17, v21
	v_pk_add_f32 v[28:29], v[12:13], v[6:7]
	v_mov_b32_e32 v16, v2
	v_pk_add_f32 v[10:11], v[10:11], v[22:23]
	v_mov_b32_e32 v26, v20
	v_mov_b32_e32 v27, v15
	;; [unrolled: 1-line block ×4, first 2 shown]
	v_pk_add_f32 v[16:17], v[16:17], v[14:15] neg_lo:[0,1] neg_hi:[0,1]
	v_pk_add_f32 v[28:29], v[28:29], v[10:11]
	v_mov_b32_e32 v11, v24
	v_pk_add_f32 v[4:5], v[14:15], v[2:3]
	v_pk_add_f32 v[26:27], v[26:27], v[2:3] neg_lo:[0,1] neg_hi:[0,1]
	v_mov_b32_e32 v15, v3
	v_pk_mul_f32 v[2:3], v[16:17], s[8:9]
	v_pk_add_f32 v[16:17], v[6:7], v[10:11] neg_lo:[0,1] neg_hi:[0,1]
	v_mov_b32_e32 v11, v18
	v_pk_add_f32 v[10:11], v[10:11], v[12:13] neg_lo:[0,1] neg_hi:[0,1]
	v_pk_add_f32 v[0:1], v[0:1], v[28:29]
	v_pk_mul_f32 v[10:11], v[10:11], s[12:13]
	v_pk_add_f32 v[4:5], v[4:5], v[20:21]
	v_pk_mul_f32 v[22:23], v[26:27], s[6:7]
	v_pk_add_f32 v[14:15], v[14:15], v[20:21] neg_lo:[0,1] neg_hi:[0,1]
	v_pk_mul_f32 v[20:21], v[16:17], s[10:11]
	v_pk_fma_f32 v[28:29], v[28:29], s[4:5], v[0:1] op_sel_hi:[1,0,1]
	v_pk_fma_f32 v[26:27], v[26:27], s[6:7], v[2:3]
	v_pk_fma_f32 v[16:17], v[16:17], s[10:11], v[10:11]
	v_pk_fma_f32 v[26:27], v[4:5], s[2:3], v[26:27] op_sel_hi:[1,0,1]
	v_pk_add_f32 v[16:17], v[16:17], v[28:29]
	v_mov_b32_e32 v13, v24
	v_pk_add_f32 v[32:33], v[16:17], v[26:27]
	v_pk_add_f32 v[16:17], v[16:17], v[26:27] neg_lo:[0,1] neg_hi:[0,1]
	v_mov_b32_e32 v26, v32
	v_mov_b32_e32 v27, v17
	;; [unrolled: 1-line block ×4, first 2 shown]
	ds_write2_b64 v42, v[0:1], v[26:27] offset0:48 offset1:192
	v_mov_b32_e32 v31, v11
	v_pk_add_f32 v[0:1], v[12:13], v[6:7] neg_lo:[0,1] neg_hi:[0,1]
	v_mov_b32_e32 v12, v22
	v_mov_b32_e32 v13, v3
	;; [unrolled: 1-line block ×4, first 2 shown]
	v_pk_fma_f32 v[6:7], v[0:1], s[16:17], v[30:31] op_sel_hi:[1,0,1] neg_lo:[1,0,1] neg_hi:[1,0,1]
	v_pk_fma_f32 v[12:13], v[14:15], s[14:15], v[12:13] op_sel_hi:[1,0,1] neg_lo:[1,0,1] neg_hi:[1,0,1]
	;; [unrolled: 1-line block ×4, first 2 shown]
	v_pk_add_f32 v[6:7], v[6:7], v[28:29]
	v_pk_fma_f32 v[12:13], v[4:5], s[2:3], v[12:13] op_sel_hi:[1,0,1]
	v_pk_fma_f32 v[2:3], v[4:5], s[2:3], v[2:3] op_sel_hi:[1,0,1]
	v_pk_add_f32 v[0:1], v[0:1], v[28:29]
	v_pk_add_f32 v[18:19], v[6:7], v[12:13]
	v_pk_add_f32 v[6:7], v[6:7], v[12:13] neg_lo:[0,1] neg_hi:[0,1]
	v_pk_add_f32 v[4:5], v[0:1], v[2:3] neg_lo:[0,1] neg_hi:[0,1]
	v_pk_add_f32 v[0:1], v[0:1], v[2:3]
	v_mov_b32_e32 v12, v18
	v_mov_b32_e32 v13, v7
	;; [unrolled: 1-line block ×4, first 2 shown]
	v_add_u32_e32 v1, 0xc00, v70
	ds_write2_b64 v1, v[12:13], v[2:3] offset0:16 offset1:160
	v_mov_b32_e32 v1, v5
	v_mov_b32_e32 v7, v19
	;; [unrolled: 1-line block ×3, first 2 shown]
	ds_write2_b64 v9, v[0:1], v[6:7] offset0:48 offset1:192
	ds_write_b64 v70, v[16:17] offset:7808
.LBB0_23:
	s_or_b64 exec, exec, s[18:19]
	s_waitcnt lgkmcnt(0)
	; wave barrier
	s_waitcnt lgkmcnt(0)
	s_and_saveexec_b64 s[2:3], s[0:1]
	s_cbranch_execz .LBB0_25
; %bb.24:
	v_lshl_add_u32 v8, v56, 3, 0
	ds_read2_b64 v[0:3], v8 offset1:56
	v_mov_b32_e32 v57, 0
	v_add_u32_e32 v4, 56, v56
	v_lshl_add_u64 v[6:7], v[56:57], 3, v[58:59]
	v_mov_b32_e32 v5, v57
	s_waitcnt lgkmcnt(0)
	global_store_dwordx2 v[6:7], v[0:1], off
	v_lshl_add_u64 v[0:1], v[4:5], 3, v[58:59]
	ds_read2_b64 v[4:7], v8 offset0:112 offset1:168
	global_store_dwordx2 v[0:1], v[2:3], off
	v_add_u32_e32 v0, 0x70, v56
	v_mov_b32_e32 v1, v57
	v_lshl_add_u64 v[0:1], v[0:1], 3, v[58:59]
	s_waitcnt lgkmcnt(0)
	global_store_dwordx2 v[0:1], v[4:5], off
	v_add_u32_e32 v0, 0xa8, v56
	v_mov_b32_e32 v1, v57
	v_lshl_add_u64 v[4:5], v[0:1], 3, v[58:59]
	v_add_u32_e32 v0, 0x400, v8
	ds_read2_b64 v[0:3], v0 offset0:96 offset1:152
	global_store_dwordx2 v[4:5], v[6:7], off
	v_add_u32_e32 v4, 0xe0, v56
	v_mov_b32_e32 v5, v57
	v_lshl_add_u64 v[4:5], v[4:5], 3, v[58:59]
	v_add_u32_e32 v9, 0x800, v8
	s_waitcnt lgkmcnt(0)
	global_store_dwordx2 v[4:5], v[0:1], off
	ds_read2_b64 v[4:7], v9 offset0:80 offset1:136
	v_add_u32_e32 v0, 0x118, v56
	v_mov_b32_e32 v1, v57
	v_lshl_add_u64 v[0:1], v[0:1], 3, v[58:59]
	global_store_dwordx2 v[0:1], v[2:3], off
	v_add_u32_e32 v0, 0x150, v56
	v_mov_b32_e32 v1, v57
	v_lshl_add_u64 v[0:1], v[0:1], 3, v[58:59]
	s_waitcnt lgkmcnt(0)
	global_store_dwordx2 v[0:1], v[4:5], off
	v_add_u32_e32 v0, 0x188, v56
	v_mov_b32_e32 v1, v57
	v_lshl_add_u64 v[4:5], v[0:1], 3, v[58:59]
	ds_read2_b64 v[0:3], v9 offset0:192 offset1:248
	global_store_dwordx2 v[4:5], v[6:7], off
	v_add_u32_e32 v4, 0x1c0, v56
	v_mov_b32_e32 v5, v57
	v_lshl_add_u64 v[4:5], v[4:5], 3, v[58:59]
	v_add_u32_e32 v9, 0x1000, v8
	s_waitcnt lgkmcnt(0)
	global_store_dwordx2 v[4:5], v[0:1], off
	ds_read2_b64 v[4:7], v9 offset0:48 offset1:104
	v_add_u32_e32 v0, 0x1f8, v56
	v_mov_b32_e32 v1, v57
	v_lshl_add_u64 v[0:1], v[0:1], 3, v[58:59]
	global_store_dwordx2 v[0:1], v[2:3], off
	v_add_u32_e32 v0, 0x230, v56
	v_mov_b32_e32 v1, v57
	v_lshl_add_u64 v[0:1], v[0:1], 3, v[58:59]
	s_waitcnt lgkmcnt(0)
	global_store_dwordx2 v[0:1], v[4:5], off
	v_add_u32_e32 v0, 0x268, v56
	v_mov_b32_e32 v1, v57
	v_lshl_add_u64 v[4:5], v[0:1], 3, v[58:59]
	;; [unrolled: 21-line block ×3, first 2 shown]
	ds_read2_b64 v[0:3], v8 offset0:128 offset1:184
	global_store_dwordx2 v[4:5], v[6:7], off
	v_add_u32_e32 v4, 0x380, v56
	v_mov_b32_e32 v5, v57
	v_lshl_add_u64 v[4:5], v[4:5], 3, v[58:59]
	v_add_u32_e32 v56, 0x3b8, v56
	s_waitcnt lgkmcnt(0)
	global_store_dwordx2 v[4:5], v[0:1], off
	v_lshl_add_u64 v[0:1], v[56:57], 3, v[58:59]
	global_store_dwordx2 v[0:1], v[2:3], off
.LBB0_25:
	s_endpgm
	.section	.rodata,"a",@progbits
	.p2align	6, 0x0
	.amdhsa_kernel fft_rtc_fwd_len1008_factors_2_2_2_2_3_3_7_wgs_56_tpt_56_halfLds_sp_ip_CI_unitstride_sbrr_C2R_dirReg
		.amdhsa_group_segment_fixed_size 0
		.amdhsa_private_segment_fixed_size 0
		.amdhsa_kernarg_size 88
		.amdhsa_user_sgpr_count 2
		.amdhsa_user_sgpr_dispatch_ptr 0
		.amdhsa_user_sgpr_queue_ptr 0
		.amdhsa_user_sgpr_kernarg_segment_ptr 1
		.amdhsa_user_sgpr_dispatch_id 0
		.amdhsa_user_sgpr_kernarg_preload_length 0
		.amdhsa_user_sgpr_kernarg_preload_offset 0
		.amdhsa_user_sgpr_private_segment_size 0
		.amdhsa_uses_dynamic_stack 0
		.amdhsa_enable_private_segment 0
		.amdhsa_system_sgpr_workgroup_id_x 1
		.amdhsa_system_sgpr_workgroup_id_y 0
		.amdhsa_system_sgpr_workgroup_id_z 0
		.amdhsa_system_sgpr_workgroup_info 0
		.amdhsa_system_vgpr_workitem_id 0
		.amdhsa_next_free_vgpr 112
		.amdhsa_next_free_sgpr 22
		.amdhsa_accum_offset 112
		.amdhsa_reserve_vcc 1
		.amdhsa_float_round_mode_32 0
		.amdhsa_float_round_mode_16_64 0
		.amdhsa_float_denorm_mode_32 3
		.amdhsa_float_denorm_mode_16_64 3
		.amdhsa_dx10_clamp 1
		.amdhsa_ieee_mode 1
		.amdhsa_fp16_overflow 0
		.amdhsa_tg_split 0
		.amdhsa_exception_fp_ieee_invalid_op 0
		.amdhsa_exception_fp_denorm_src 0
		.amdhsa_exception_fp_ieee_div_zero 0
		.amdhsa_exception_fp_ieee_overflow 0
		.amdhsa_exception_fp_ieee_underflow 0
		.amdhsa_exception_fp_ieee_inexact 0
		.amdhsa_exception_int_div_zero 0
	.end_amdhsa_kernel
	.text
.Lfunc_end0:
	.size	fft_rtc_fwd_len1008_factors_2_2_2_2_3_3_7_wgs_56_tpt_56_halfLds_sp_ip_CI_unitstride_sbrr_C2R_dirReg, .Lfunc_end0-fft_rtc_fwd_len1008_factors_2_2_2_2_3_3_7_wgs_56_tpt_56_halfLds_sp_ip_CI_unitstride_sbrr_C2R_dirReg
                                        ; -- End function
	.section	.AMDGPU.csdata,"",@progbits
; Kernel info:
; codeLenInByte = 11968
; NumSgprs: 28
; NumVgprs: 112
; NumAgprs: 0
; TotalNumVgprs: 112
; ScratchSize: 0
; MemoryBound: 0
; FloatMode: 240
; IeeeMode: 1
; LDSByteSize: 0 bytes/workgroup (compile time only)
; SGPRBlocks: 3
; VGPRBlocks: 13
; NumSGPRsForWavesPerEU: 28
; NumVGPRsForWavesPerEU: 112
; AccumOffset: 112
; Occupancy: 4
; WaveLimiterHint : 1
; COMPUTE_PGM_RSRC2:SCRATCH_EN: 0
; COMPUTE_PGM_RSRC2:USER_SGPR: 2
; COMPUTE_PGM_RSRC2:TRAP_HANDLER: 0
; COMPUTE_PGM_RSRC2:TGID_X_EN: 1
; COMPUTE_PGM_RSRC2:TGID_Y_EN: 0
; COMPUTE_PGM_RSRC2:TGID_Z_EN: 0
; COMPUTE_PGM_RSRC2:TIDIG_COMP_CNT: 0
; COMPUTE_PGM_RSRC3_GFX90A:ACCUM_OFFSET: 27
; COMPUTE_PGM_RSRC3_GFX90A:TG_SPLIT: 0
	.text
	.p2alignl 6, 3212836864
	.fill 256, 4, 3212836864
	.type	__hip_cuid_1392bf1694e8b21f,@object ; @__hip_cuid_1392bf1694e8b21f
	.section	.bss,"aw",@nobits
	.globl	__hip_cuid_1392bf1694e8b21f
__hip_cuid_1392bf1694e8b21f:
	.byte	0                               ; 0x0
	.size	__hip_cuid_1392bf1694e8b21f, 1

	.ident	"AMD clang version 19.0.0git (https://github.com/RadeonOpenCompute/llvm-project roc-6.4.0 25133 c7fe45cf4b819c5991fe208aaa96edf142730f1d)"
	.section	".note.GNU-stack","",@progbits
	.addrsig
	.addrsig_sym __hip_cuid_1392bf1694e8b21f
	.amdgpu_metadata
---
amdhsa.kernels:
  - .agpr_count:     0
    .args:
      - .actual_access:  read_only
        .address_space:  global
        .offset:         0
        .size:           8
        .value_kind:     global_buffer
      - .offset:         8
        .size:           8
        .value_kind:     by_value
      - .actual_access:  read_only
        .address_space:  global
        .offset:         16
        .size:           8
        .value_kind:     global_buffer
      - .actual_access:  read_only
        .address_space:  global
        .offset:         24
        .size:           8
        .value_kind:     global_buffer
      - .offset:         32
        .size:           8
        .value_kind:     by_value
      - .actual_access:  read_only
        .address_space:  global
        .offset:         40
        .size:           8
        .value_kind:     global_buffer
      - .actual_access:  read_only
        .address_space:  global
        .offset:         48
        .size:           8
        .value_kind:     global_buffer
      - .offset:         56
        .size:           4
        .value_kind:     by_value
      - .actual_access:  read_only
        .address_space:  global
        .offset:         64
        .size:           8
        .value_kind:     global_buffer
      - .actual_access:  read_only
        .address_space:  global
        .offset:         72
        .size:           8
        .value_kind:     global_buffer
      - .address_space:  global
        .offset:         80
        .size:           8
        .value_kind:     global_buffer
    .group_segment_fixed_size: 0
    .kernarg_segment_align: 8
    .kernarg_segment_size: 88
    .language:       OpenCL C
    .language_version:
      - 2
      - 0
    .max_flat_workgroup_size: 56
    .name:           fft_rtc_fwd_len1008_factors_2_2_2_2_3_3_7_wgs_56_tpt_56_halfLds_sp_ip_CI_unitstride_sbrr_C2R_dirReg
    .private_segment_fixed_size: 0
    .sgpr_count:     28
    .sgpr_spill_count: 0
    .symbol:         fft_rtc_fwd_len1008_factors_2_2_2_2_3_3_7_wgs_56_tpt_56_halfLds_sp_ip_CI_unitstride_sbrr_C2R_dirReg.kd
    .uniform_work_group_size: 1
    .uses_dynamic_stack: false
    .vgpr_count:     112
    .vgpr_spill_count: 0
    .wavefront_size: 64
amdhsa.target:   amdgcn-amd-amdhsa--gfx950
amdhsa.version:
  - 1
  - 2
...

	.end_amdgpu_metadata
